;; amdgpu-corpus repo=ROCm/rocSOLVER kind=compiled arch=gfx1250 opt=O3
	.amdgcn_target "amdgcn-amd-amdhsa--gfx1250"
	.amdhsa_code_object_version 6
	.section	.text._ZN9rocsolver6v33100L18getf2_panel_kernelI19rocblas_complex_numIfEiiPS3_EEvT0_S5_T2_lS5_lPS5_llPT1_S5_S5_S7_l,"axG",@progbits,_ZN9rocsolver6v33100L18getf2_panel_kernelI19rocblas_complex_numIfEiiPS3_EEvT0_S5_T2_lS5_lPS5_llPT1_S5_S5_S7_l,comdat
	.globl	_ZN9rocsolver6v33100L18getf2_panel_kernelI19rocblas_complex_numIfEiiPS3_EEvT0_S5_T2_lS5_lPS5_llPT1_S5_S5_S7_l ; -- Begin function _ZN9rocsolver6v33100L18getf2_panel_kernelI19rocblas_complex_numIfEiiPS3_EEvT0_S5_T2_lS5_lPS5_llPT1_S5_S5_S7_l
	.p2align	8
	.type	_ZN9rocsolver6v33100L18getf2_panel_kernelI19rocblas_complex_numIfEiiPS3_EEvT0_S5_T2_lS5_lPS5_llPT1_S5_S5_S7_l,@function
_ZN9rocsolver6v33100L18getf2_panel_kernelI19rocblas_complex_numIfEiiPS3_EEvT0_S5_T2_lS5_lPS5_llPT1_S5_S5_S7_l: ; @_ZN9rocsolver6v33100L18getf2_panel_kernelI19rocblas_complex_numIfEiiPS3_EEvT0_S5_T2_lS5_lPS5_llPT1_S5_S5_S7_l
; %bb.0:
	s_clause 0x1
	s_load_b128 s[4:7], s[0:1], 0x50
	s_load_b32 s3, s[0:1], 0x6c
	s_bfe_u32 s2, ttmp6, 0x40014
	s_lshr_b32 s8, ttmp7, 16
	s_add_co_i32 s2, s2, 1
	s_bfe_u32 s9, ttmp6, 0x40008
	s_mul_i32 s2, s8, s2
	s_getreg_b32 s10, hwreg(HW_REG_IB_STS2, 6, 4)
	s_add_co_i32 s9, s9, s2
	s_cmp_eq_u32 s10, 0
	s_mov_b32 s13, 0
	s_cselect_b32 s12, s8, s9
	s_mov_b64 s[16:17], 0
	s_wait_kmcnt 0x0
	s_cmp_eq_u64 s[4:5], 0
	s_cselect_b32 s22, -1, 0
	s_delay_alu instid0(SALU_CYCLE_1)
	s_and_b32 vcc_lo, exec_lo, s22
	s_cbranch_vccnz .LBB0_2
; %bb.1:
	s_mul_u64 s[6:7], s[6:7], s[12:13]
	s_delay_alu instid0(SALU_CYCLE_1) | instskip(NEXT) | instid1(SALU_CYCLE_1)
	s_lshl_b64 s[6:7], s[6:7], 2
	s_add_nc_u64 s[16:17], s[4:5], s[6:7]
.LBB0_2:
	s_clause 0x3
	s_load_b256 s[4:11], s[0:1], 0x20
	s_load_b128 s[28:31], s[0:1], 0x8
	s_load_b64 s[18:19], s[0:1], 0x0
	s_load_b64 s[14:15], s[0:1], 0x40
	v_bfe_u32 v16, v0, 10, 10
	s_and_b32 s26, s3, 0xffff
	v_and_b32_e32 v17, 0x3ff, v0
	s_lshl_b32 s2, s26, 3
	s_lshl_b32 s25, s26, 2
	s_add_co_i32 s23, s2, 8
	v_cmp_eq_u32_e64 s2, 0, v16
                                        ; implicit-def: $vgpr18
	s_wait_kmcnt 0x0
	s_mul_u64 s[4:5], s[4:5], s[12:13]
	s_lshl_b64 s[20:21], s[30:31], 3
	s_lshl_b64 s[4:5], s[4:5], 3
	s_lshl_b32 s24, s19, 3
	s_add_nc_u64 s[4:5], s[28:29], s[4:5]
	s_add_co_i32 s24, s23, s24
	s_add_nc_u64 s[20:21], s[4:5], s[20:21]
	s_add_co_i32 s4, s24, s25
	s_and_saveexec_b32 s5, s2
	s_cbranch_execz .LBB0_6
; %bb.3:
	v_dual_mov_b32 v0, 0 :: v_dual_mov_b32 v1, 0
	s_mov_b32 s25, exec_lo
	v_cmpx_gt_i32_e64 s18, v17
	s_cbranch_execz .LBB0_5
; %bb.4:
	global_load_b64 v[0:1], v17, s[20:21] scale_offset
.LBB0_5:
	s_wait_xcnt 0x0
	s_or_b32 exec_lo, exec_lo, s25
	s_wait_loadcnt 0x0
	v_cmp_gt_f32_e32 vcc_lo, 0, v1
	v_lshl_add_u32 v5, v17, 3, 8
	v_cndmask_b32_e64 v2, v1, -v1, vcc_lo
	v_cmp_gt_f32_e32 vcc_lo, 0, v0
	v_dual_cndmask_b32 v3, v0, -v0, vcc_lo :: v_dual_lshlrev_b32 v4, 2, v17
	s_delay_alu instid0(VALU_DEP_1)
	v_dual_add_f32 v18, v3, v2 :: v_dual_add_nc_u32 v2, s24, v4
	v_add_nc_u32_e32 v3, s4, v4
	ds_store_b64 v5, v[0:1]
	ds_store_b32 v2, v18
	ds_store_b32 v3, v17
.LBB0_6:
	s_or_b32 exec_lo, exec_lo, s5
	s_load_b32 s25, s[0:1], 0x4c
	s_cmp_lt_i32 s19, 1
	s_cbranch_scc1 .LBB0_56
; %bb.7:
	s_mul_u64 s[28:29], s[10:11], s[12:13]
	s_load_b32 s10, s[0:1], 0x18
	v_dual_lshlrev_b32 v0, 2, v17 :: v_dual_bitop2_b32 v1, v17, v16 bitop3:0x54
	s_wait_xcnt 0x0
	s_lshl_b64 s[0:1], s[28:29], 2
	v_dual_lshlrev_b32 v2, 3, v17 :: v_dual_add_nc_u32 v23, 2, v16
	s_add_nc_u64 s[0:1], s[6:7], s[0:1]
	s_lshl_b64 s[6:7], s[8:9], 2
	v_lshlrev_b32_e32 v4, 3, v16
	s_add_nc_u64 s[6:7], s[0:1], s[6:7]
	v_cmp_eq_u32_e64 s0, 0, v1
	v_dual_mov_b32 v1, 0 :: v_dual_add_nc_u32 v19, s24, v0
	v_add_nc_u32_e32 v20, s4, v0
	v_cmp_gt_u32_e32 vcc_lo, s19, v17
	v_dual_add_nc_u32 v21, 8, v2 :: v_dual_add_nc_u32 v24, s23, v2
	s_delay_alu instid0(VALU_DEP_4)
	v_add_nc_u64_e32 v[2:3], s[16:17], v[0:1]
	v_add3_u32 v0, s23, v4, 16
	v_mov_b64_e32 v[4:5], 0
	s_wait_kmcnt 0x0
	v_mul_lo_u32 v22, s10, v17
	v_mad_u32 v25, s10, v23, v17
	s_lshr_b32 s11, s3, 16
	s_lshr_b32 s9, s26, 1
	v_cmp_gt_i32_e64 s1, s18, v17
	v_cmp_le_i32_e64 s3, s18, v17
	v_mov_b32_e32 v26, s4
	s_cmp_gt_u32 s26, 1
	s_mov_b32 s8, 0
	s_cselect_b32 s13, -1, 0
	s_add_co_i32 s26, s25, 1
	s_and_b32 s27, s2, vcc_lo
	s_add_co_i32 s18, s19, -1
	s_mul_i32 s28, s10, s11
	s_lshl_b32 s29, s11, 3
	s_mov_b32 s30, 0
	s_branch .LBB0_9
.LBB0_8:                                ;   in Loop: Header=BB0_9 Depth=1
	s_or_b32 exec_lo, exec_lo, s4
	v_dual_add_nc_u32 v25, s10, v25 :: v_dual_add_nc_u32 v0, 8, v0
	s_add_co_i32 s30, s30, 1
	s_delay_alu instid0(SALU_CYCLE_1)
	s_cmp_eq_u32 s30, s19
	s_cbranch_scc1 .LBB0_57
.LBB0_9:                                ; =>This Loop Header: Depth=1
                                        ;     Child Loop BB0_16 Depth 2
                                        ;     Child Loop BB0_50 Depth 2
	v_mov_b32_e32 v6, v17
	s_and_not1_b32 vcc_lo, exec_lo, s13
	s_mov_b32 s5, s9
	s_wait_dscnt 0x0
	s_barrier_signal -1
	s_barrier_wait -1
	s_cbranch_vccnz .LBB0_18
; %bb.10:                               ;   in Loop: Header=BB0_9 Depth=1
	v_cmp_gt_u32_e32 vcc_lo, s5, v17
	s_and_b32 s4, s2, vcc_lo
	s_delay_alu instid0(SALU_CYCLE_1)
	s_and_saveexec_b32 s31, s4
	s_cbranch_execz .LBB0_16
.LBB0_11:                               ;   in Loop: Header=BB0_9 Depth=1
	s_lshl_b32 s4, s5, 2
	s_mov_b32 s34, exec_lo
	v_dual_add_nc_u32 v7, s4, v19 :: v_dual_add_nc_u32 v8, s4, v20
	ds_load_b32 v7, v7
	ds_load_b32 v8, v8
	s_wait_dscnt 0x1
	v_cmp_lt_f32_e64 s33, v18, v7
	v_cmpx_nlt_f32_e32 v18, v7
	s_cbranch_execz .LBB0_13
; %bb.12:                               ;   in Loop: Header=BB0_9 Depth=1
	v_cmp_eq_f32_e32 vcc_lo, v18, v7
	s_wait_dscnt 0x0
	v_cmp_gt_i32_e64 s4, v6, v8
	s_and_not1_b32 s33, s33, exec_lo
	s_and_b32 s4, vcc_lo, s4
	s_delay_alu instid0(SALU_CYCLE_1) | instskip(NEXT) | instid1(SALU_CYCLE_1)
	s_and_b32 s4, s4, exec_lo
	s_or_b32 s33, s33, s4
.LBB0_13:                               ;   in Loop: Header=BB0_9 Depth=1
	s_or_b32 exec_lo, exec_lo, s34
	s_and_saveexec_b32 s4, s33
	s_cbranch_execz .LBB0_15
; %bb.14:                               ;   in Loop: Header=BB0_9 Depth=1
	s_wait_dscnt 0x0
	v_dual_mov_b32 v18, v7 :: v_dual_mov_b32 v6, v8
	ds_store_b32 v19, v7
	ds_store_b32 v20, v8
.LBB0_15:                               ;   in Loop: Header=BB0_9 Depth=1
	s_or_b32 exec_lo, exec_lo, s4
.LBB0_16:                               ;   Parent Loop BB0_9 Depth=1
                                        ; =>  This Inner Loop Header: Depth=2
	s_delay_alu instid0(SALU_CYCLE_1)
	s_or_b32 exec_lo, exec_lo, s31
	s_lshr_b32 s4, s5, 1
	s_cmp_lt_u32 s5, 2
	s_wait_dscnt 0x0
	s_barrier_signal -1
	s_barrier_wait -1
	s_cbranch_scc1 .LBB0_18
; %bb.17:                               ;   in Loop: Header=BB0_16 Depth=2
	s_mov_b32 s5, s4
	s_delay_alu instid0(SALU_CYCLE_1) | instskip(SKIP_1) | instid1(SALU_CYCLE_1)
	v_cmp_gt_u32_e32 vcc_lo, s5, v17
	s_and_b32 s4, s2, vcc_lo
	s_and_saveexec_b32 s31, s4
	s_cbranch_execnz .LBB0_11
	s_branch .LBB0_16
.LBB0_18:                               ;   in Loop: Header=BB0_9 Depth=1
	ds_load_b32 v8, v26
	s_wait_dscnt 0x0
	v_lshlrev_b32_e32 v6, 3, v8
	s_delay_alu instid0(VALU_DEP_1)
	v_add_nc_u32_e32 v6, 8, v6
	ds_load_b64 v[6:7], v6
	s_wait_dscnt 0x0
	v_readfirstlane_b32 s4, v6
	v_readfirstlane_b32 s5, v7
	s_cmp_eq_f32 s4, 0
	s_cselect_b32 s31, -1, 0
	s_cmp_eq_f32 s5, 0
	s_cselect_b32 s33, -1, 0
	s_delay_alu instid0(SALU_CYCLE_1)
	s_and_b32 s33, s31, s33
	v_readfirstlane_b32 s31, v8
	s_and_not1_b32 vcc_lo, exec_lo, s33
	s_cbranch_vccz .LBB0_21
; %bb.19:                               ;   in Loop: Header=BB0_9 Depth=1
	s_and_b32 s33, s4, 0x7fffffff
	s_and_b32 s34, s5, 0x7fffffff
	s_delay_alu instid0(SALU_CYCLE_1)
	s_cmp_ngt_f32 s33, s34
	s_cbranch_scc0 .LBB0_22
; %bb.20:                               ;   in Loop: Header=BB0_9 Depth=1
	v_div_scale_f32 v6, null, s5, s5, s4
	v_div_scale_f32 v9, vcc_lo, s4, s5, s4
	s_delay_alu instid0(VALU_DEP_2)
	v_rcp_f32_e32 v7, v6
	v_nop
	v_xor_b32_e32 v6, 0x80000000, v6
	s_delay_alu instid0(TRANS32_DEP_1) | instid1(VALU_DEP_1)
	v_fma_f32 v8, v6, v7, 1.0
	s_delay_alu instid0(VALU_DEP_1) | instskip(NEXT) | instid1(VALU_DEP_1)
	v_fmac_f32_e32 v7, v8, v7
	v_mul_f32_e32 v8, v9, v7
	s_delay_alu instid0(VALU_DEP_1) | instskip(NEXT) | instid1(VALU_DEP_1)
	v_fma_f32 v10, v6, v8, v9
	v_fmac_f32_e32 v8, v10, v7
	s_delay_alu instid0(VALU_DEP_1) | instskip(NEXT) | instid1(VALU_DEP_1)
	v_fmac_f32_e32 v9, v6, v8
	v_div_fmas_f32 v6, v9, v7, v8
	s_delay_alu instid0(VALU_DEP_1) | instskip(NEXT) | instid1(VALU_DEP_1)
	v_div_fixup_f32 v6, v6, s5, s4
	v_fma_f32 v7, s4, v6, s5
	s_delay_alu instid0(VALU_DEP_1) | instskip(SKIP_1) | instid1(VALU_DEP_2)
	v_div_scale_f32 v8, null, v7, v7, 1.0
	v_div_scale_f32 v11, vcc_lo, 1.0, v7, 1.0
	v_rcp_f32_e32 v9, v8
	v_nop
	v_xor_b32_e32 v8, 0x80000000, v8
	s_delay_alu instid0(TRANS32_DEP_1) | instid1(VALU_DEP_1)
	v_fma_f32 v10, v8, v9, 1.0
	s_delay_alu instid0(VALU_DEP_1) | instskip(NEXT) | instid1(VALU_DEP_1)
	v_fmac_f32_e32 v9, v10, v9
	v_mul_f32_e32 v10, v11, v9
	s_delay_alu instid0(VALU_DEP_1) | instskip(NEXT) | instid1(VALU_DEP_1)
	v_fma_f32 v12, v8, v10, v11
	v_fmac_f32_e32 v10, v12, v9
	s_delay_alu instid0(VALU_DEP_1) | instskip(NEXT) | instid1(VALU_DEP_1)
	v_fmac_f32_e32 v11, v8, v10
	v_div_fmas_f32 v8, v11, v9, v10
	s_delay_alu instid0(VALU_DEP_1) | instskip(NEXT) | instid1(VALU_DEP_1)
	v_div_fixup_f32 v7, v8, v7, 1.0
	v_mul_f32_e32 v6, v6, v7
	v_xor_b32_e32 v7, 0x80000000, v7
	s_delay_alu instid0(VALU_DEP_1)
	v_mov_b64_e32 v[8:9], v[6:7]
	s_cbranch_execz .LBB0_23
	s_branch .LBB0_24
.LBB0_21:                               ;   in Loop: Header=BB0_9 Depth=1
                                        ; implicit-def: $vgpr7
                                        ; implicit-def: $vgpr8_vgpr9
	s_branch .LBB0_25
.LBB0_22:                               ;   in Loop: Header=BB0_9 Depth=1
                                        ; implicit-def: $vgpr7
                                        ; implicit-def: $vgpr8_vgpr9
.LBB0_23:                               ;   in Loop: Header=BB0_9 Depth=1
	v_div_scale_f32 v6, null, s4, s4, s5
	v_div_scale_f32 v9, vcc_lo, s5, s4, s5
	s_delay_alu instid0(VALU_DEP_2)
	v_rcp_f32_e32 v7, v6
	v_nop
	v_xor_b32_e32 v6, 0x80000000, v6
	s_delay_alu instid0(TRANS32_DEP_1) | instid1(VALU_DEP_1)
	v_fma_f32 v8, v6, v7, 1.0
	s_delay_alu instid0(VALU_DEP_1) | instskip(NEXT) | instid1(VALU_DEP_1)
	v_fmac_f32_e32 v7, v8, v7
	v_mul_f32_e32 v8, v9, v7
	s_delay_alu instid0(VALU_DEP_1) | instskip(NEXT) | instid1(VALU_DEP_1)
	v_fma_f32 v10, v6, v8, v9
	v_fmac_f32_e32 v8, v10, v7
	s_delay_alu instid0(VALU_DEP_1) | instskip(NEXT) | instid1(VALU_DEP_1)
	v_fmac_f32_e32 v9, v6, v8
	v_div_fmas_f32 v6, v9, v7, v8
	s_delay_alu instid0(VALU_DEP_1) | instskip(NEXT) | instid1(VALU_DEP_1)
	v_div_fixup_f32 v7, v6, s4, s5
	v_fma_f32 v6, s5, v7, s4
	s_delay_alu instid0(VALU_DEP_1) | instskip(NEXT) | instid1(VALU_DEP_1)
	v_div_scale_f32 v8, null, v6, v6, 1.0
	v_rcp_f32_e32 v9, v8
	v_nop
	v_xor_b32_e32 v8, 0x80000000, v8
	s_delay_alu instid0(TRANS32_DEP_1) | instid1(VALU_DEP_1)
	v_fma_f32 v10, v8, v9, 1.0
	s_delay_alu instid0(VALU_DEP_1) | instskip(SKIP_1) | instid1(VALU_DEP_1)
	v_fmac_f32_e32 v9, v10, v9
	v_div_scale_f32 v10, vcc_lo, 1.0, v6, 1.0
	v_mul_f32_e32 v11, v10, v9
	s_delay_alu instid0(VALU_DEP_1) | instskip(NEXT) | instid1(VALU_DEP_1)
	v_fma_f32 v12, v8, v11, v10
	v_fmac_f32_e32 v11, v12, v9
	s_delay_alu instid0(VALU_DEP_1) | instskip(NEXT) | instid1(VALU_DEP_1)
	v_fmac_f32_e32 v10, v8, v11
	v_div_fmas_f32 v8, v10, v9, v11
	s_delay_alu instid0(VALU_DEP_1) | instskip(NEXT) | instid1(VALU_DEP_1)
	v_div_fixup_f32 v6, v8, v6, 1.0
	v_xor_b32_e32 v8, 0x80000000, v6
	s_delay_alu instid0(VALU_DEP_1) | instskip(NEXT) | instid1(VALU_DEP_1)
	v_mul_f32_e32 v7, v7, v8
	v_mov_b64_e32 v[8:9], v[6:7]
.LBB0_24:                               ;   in Loop: Header=BB0_9 Depth=1
	s_cbranch_execnz .LBB0_26
.LBB0_25:                               ;   in Loop: Header=BB0_9 Depth=1
	v_mov_b64_e32 v[8:9], s[4:5]
	s_add_co_i32 s31, s30, 1
	v_dual_mov_b32 v6, s4 :: v_dual_mov_b32 v7, s5
	s_cmp_eq_u32 s8, 0
	s_cselect_b32 s8, s31, s8
	s_mov_b32 s31, s30
.LBB0_26:                               ;   in Loop: Header=BB0_9 Depth=1
	s_and_saveexec_b32 s4, s0
	s_cbranch_execz .LBB0_28
; %bb.27:                               ;   in Loop: Header=BB0_9 Depth=1
	s_add_co_i32 s5, s26, s31
	s_delay_alu instid0(SALU_CYCLE_1)
	v_dual_mov_b32 v10, s30 :: v_dual_mov_b32 v11, s5
	global_store_b32 v10, v11, s[6:7] scale_offset
.LBB0_28:                               ;   in Loop: Header=BB0_9 Depth=1
	s_wait_xcnt 0x0
	s_or_b32 exec_lo, exec_lo, s4
	s_delay_alu instid0(SALU_CYCLE_1)
	s_mov_b32 s5, exec_lo
	v_cmp_eq_u32_e32 vcc_lo, s31, v17
	v_cmpx_ne_u32_e64 s31, v17
	s_cbranch_execz .LBB0_32
; %bb.29:                               ;   in Loop: Header=BB0_9 Depth=1
	ds_load_b64 v[10:11], v21
	v_cmp_le_u32_e64 s4, s30, v17
	s_and_b32 s4, s2, s4
	s_delay_alu instid0(SALU_CYCLE_1) | instskip(SKIP_2) | instid1(VALU_DEP_1)
	s_and_b32 s33, s1, s4
	s_wait_dscnt 0x0
	v_pk_mul_f32 v[12:13], v[8:9], v[10:11] op_sel:[1,1] op_sel_hi:[1,0]
	v_pk_fma_f32 v[6:7], v[8:9], v[10:11], v[12:13] op_sel_hi:[0,1,1] neg_lo:[0,0,1] neg_hi:[0,0,1]
	v_pk_fma_f32 v[8:9], v[8:9], v[10:11], v[12:13] op_sel_hi:[0,1,1]
	s_and_saveexec_b32 s4, s33
	s_cbranch_execz .LBB0_31
; %bb.30:                               ;   in Loop: Header=BB0_9 Depth=1
	v_mad_u32 v8, s30, s10, v17
	s_delay_alu instid0(VALU_DEP_2)
	v_mov_b32_e32 v7, v9
	global_store_b64 v8, v[6:7], s[20:21] scale_offset
.LBB0_31:                               ;   in Loop: Header=BB0_9 Depth=1
	s_wait_xcnt 0x0
	s_or_b32 exec_lo, exec_lo, s4
	v_mov_b32_e32 v7, v9
.LBB0_32:                               ;   in Loop: Header=BB0_9 Depth=1
	s_or_b32 exec_lo, exec_lo, s5
	v_add_nc_u32_e32 v27, s31, v22
	s_and_saveexec_b32 s5, s27
	s_cbranch_execz .LBB0_35
; %bb.33:                               ;   in Loop: Header=BB0_9 Depth=1
	global_load_b64 v[8:9], v27, s[20:21] scale_offset
	v_cmp_eq_u32_e64 s4, s30, v17
	s_wait_loadcnt 0x0
	ds_store_b64 v24, v[8:9]
	s_wait_xcnt 0x0
	s_and_b32 exec_lo, exec_lo, s4
; %bb.34:                               ;   in Loop: Header=BB0_9 Depth=1
	ds_store_b64 v1, v[6:7]
.LBB0_35:                               ;   in Loop: Header=BB0_9 Depth=1
	s_or_b32 exec_lo, exec_lo, s5
	s_cmp_lg_u32 s31, s30
	s_wait_storecnt_dscnt 0x0
	s_cselect_b32 s4, -1, 0
	s_barrier_signal -1
	s_and_b32 s4, s27, s4
	s_barrier_wait -1
	s_and_saveexec_b32 s33, s4
	s_cbranch_execz .LBB0_45
; %bb.36:                               ;   in Loop: Header=BB0_9 Depth=1
	v_add_nc_u32_e32 v8, s30, v22
	s_mov_b64 s[4:5], src_shared_base
	v_cmp_ne_u32_e64 s4, s30, v17
	s_delay_alu instid0(VALU_DEP_2) | instskip(NEXT) | instid1(VALU_DEP_1)
	v_ashrrev_i32_e32 v9, 31, v8
	v_lshl_add_u64 v[8:9], v[8:9], 3, s[20:21]
	s_delay_alu instid0(VALU_DEP_1) | instskip(NEXT) | instid1(VALU_DEP_2)
	v_cndmask_b32_e64 v11, s5, v9, s4
	v_cndmask_b32_e64 v10, 0, v8, s4
	v_cmp_ge_u32_e64 s5, s30, v17
	flat_load_b64 v[12:13], v[10:11]
                                        ; implicit-def: $vgpr10_vgpr11
	s_wait_xcnt 0x0
	s_and_saveexec_b32 s34, s5
	s_delay_alu instid0(SALU_CYCLE_1)
	s_xor_b32 s5, exec_lo, s34
; %bb.37:                               ;   in Loop: Header=BB0_9 Depth=1
	ds_load_b64 v[10:11], v24
; %bb.38:                               ;   in Loop: Header=BB0_9 Depth=1
	s_or_saveexec_b32 s5, s5
	v_dual_mov_b32 v14, 0 :: v_dual_mov_b32 v15, 0
	s_xor_b32 exec_lo, exec_lo, s5
	s_cbranch_execz .LBB0_40
; %bb.39:                               ;   in Loop: Header=BB0_9 Depth=1
	ds_load_b64 v[14:15], v1
	s_wait_dscnt 0x1
	ds_load_b64 v[10:11], v24
	s_wait_dscnt 0x0
	v_pk_mul_f32 v[28:29], v[10:11], v[14:15] op_sel:[1,1] op_sel_hi:[0,1]
	v_pk_mul_f32 v[30:31], v[10:11], v[14:15] op_sel_hi:[1,0]
	s_delay_alu instid0(VALU_DEP_2) | instskip(NEXT) | instid1(VALU_DEP_2)
	v_pk_fma_f32 v[14:15], v[10:11], v[14:15], v[28:29] op_sel_hi:[1,0,1]
	v_sub_f32_e32 v14, v30, v28
.LBB0_40:                               ;   in Loop: Header=BB0_9 Depth=1
	s_or_b32 exec_lo, exec_lo, s5
	s_wait_loadcnt_dscnt 0x0
	s_delay_alu instid0(VALU_DEP_1)
	v_pk_add_f32 v[12:13], v[12:13], v[14:15] neg_lo:[0,1] neg_hi:[0,1]
	s_add_co_i32 s5, s30, 1
	s_mov_b32 s34, exec_lo
	s_clause 0x1
	global_store_b64 v27, v[12:13], s[20:21] scale_offset
	global_store_b64 v[8:9], v[10:11], off
	s_wait_xcnt 0x0
	v_cmpx_eq_u32_e64 s5, v17
	s_cbranch_execz .LBB0_42
; %bb.41:                               ;   in Loop: Header=BB0_9 Depth=1
	v_cmp_gt_f32_e64 s5, 0, v12
	s_lshl_b32 s35, s31, 3
	v_cndmask_b32_e64 v8, v12, -v12, s5
	v_cmp_gt_f32_e64 s5, 0, v13
	s_delay_alu instid0(VALU_DEP_1) | instskip(SKIP_4) | instid1(SALU_CYCLE_1)
	v_cndmask_b32_e64 v9, v13, -v13, s5
	s_add_co_i32 s5, s35, 8
	s_lshl_b32 s35, s31, 2
	v_mov_b32_e32 v10, s5
	s_add_co_i32 s5, s24, s35
	v_dual_add_f32 v18, v9, v8 :: v_dual_mov_b32 v8, s5
	ds_store_b64 v10, v[12:13]
	ds_store_b32 v8, v18
.LBB0_42:                               ;   in Loop: Header=BB0_9 Depth=1
	s_or_b32 exec_lo, exec_lo, s34
	s_nor_b32 s5, s22, s4
	s_delay_alu instid0(SALU_CYCLE_1)
	s_and_saveexec_b32 s4, s5
	s_cbranch_execz .LBB0_44
; %bb.43:                               ;   in Loop: Header=BB0_9 Depth=1
	v_mov_b32_e32 v8, s31
	s_clause 0x1
	global_load_b32 v9, v8, s[16:17] scale_offset
	global_load_b32 v10, v[2:3], off
	s_wait_loadcnt 0x1
	global_store_b32 v[2:3], v9, off
	s_wait_loadcnt 0x0
	global_store_b32 v8, v10, s[16:17] scale_offset
.LBB0_44:                               ;   in Loop: Header=BB0_9 Depth=1
	s_wait_xcnt 0x0
	s_or_b32 exec_lo, exec_lo, s4
.LBB0_45:                               ;   in Loop: Header=BB0_9 Depth=1
	s_delay_alu instid0(SALU_CYCLE_1) | instskip(SKIP_2) | instid1(SALU_CYCLE_1)
	s_or_b32 exec_lo, exec_lo, s33
	v_cmp_ge_u32_e64 s4, s30, v17
	s_or_b32 s5, s3, s4
	s_nor_b32 s31, s5, vcc_lo
	s_delay_alu instid0(SALU_CYCLE_1)
	s_and_saveexec_b32 s5, s31
	s_cbranch_execnz .LBB0_48
; %bb.46:                               ;   in Loop: Header=BB0_9 Depth=1
	s_or_b32 exec_lo, exec_lo, s5
	s_and_b32 s5, s2, s4
	s_delay_alu instid0(SALU_CYCLE_1)
	s_and_saveexec_b32 s4, s5
	s_cbranch_execnz .LBB0_54
.LBB0_47:                               ;   in Loop: Header=BB0_9 Depth=1
	s_or_b32 exec_lo, exec_lo, s4
	s_and_saveexec_b32 s4, s2
	s_cbranch_execz .LBB0_8
	s_branch .LBB0_55
.LBB0_48:                               ;   in Loop: Header=BB0_9 Depth=1
	v_add_nc_u32_e32 v12, s30, v23
	s_mov_b32 s31, exec_lo
	s_delay_alu instid0(VALU_DEP_1)
	v_cmpx_gt_i32_e64 s19, v12
	s_cbranch_execz .LBB0_51
; %bb.49:                               ;   in Loop: Header=BB0_9 Depth=1
	v_dual_mov_b32 v8, v7 :: v_dual_mov_b32 v9, v7
	v_dual_mov_b32 v10, v6 :: v_dual_mov_b32 v11, v6
	;; [unrolled: 1-line block ×3, first 2 shown]
	s_mov_b32 s33, 0
.LBB0_50:                               ;   Parent Loop BB0_9 Depth=1
                                        ; =>  This Inner Loop Header: Depth=2
	global_load_b64 v[28:29], v14, s[20:21] scale_offset
	ds_load_b64 v[30:31], v13
	v_dual_add_nc_u32 v12, s11, v12 :: v_dual_add_nc_u32 v13, s29, v13
	s_delay_alu instid0(VALU_DEP_1) | instskip(SKIP_3) | instid1(VALU_DEP_1)
	v_cmp_le_i32_e32 vcc_lo, s19, v12
	s_or_b32 s33, vcc_lo, s33
	s_wait_dscnt 0x0
	v_pk_mul_f32 v[32:33], v[8:9], v[30:31] op_sel:[0,1] op_sel_hi:[1,0]
	v_pk_fma_f32 v[34:35], v[10:11], v[30:31], v[32:33]
	v_pk_fma_f32 v[30:31], v[10:11], v[30:31], v[32:33] neg_lo:[0,0,1] neg_hi:[0,0,1]
	s_delay_alu instid0(VALU_DEP_2) | instskip(SKIP_1) | instid1(VALU_DEP_1)
	v_mov_b32_e32 v31, v35
	s_wait_loadcnt 0x0
	v_pk_add_f32 v[28:29], v[28:29], v[30:31] neg_lo:[0,1] neg_hi:[0,1]
	global_store_b64 v14, v[28:29], s[20:21] scale_offset
	s_wait_xcnt 0x0
	v_add_nc_u32_e32 v14, s28, v14
	s_and_not1_b32 exec_lo, exec_lo, s33
	s_cbranch_execnz .LBB0_50
.LBB0_51:                               ;   in Loop: Header=BB0_9 Depth=1
	s_or_b32 exec_lo, exec_lo, s31
	s_cmp_lt_i32 s30, s18
	s_cselect_b32 s31, -1, 0
	s_delay_alu instid0(SALU_CYCLE_1) | instskip(NEXT) | instid1(SALU_CYCLE_1)
	s_and_b32 s33, s2, s31
	s_and_saveexec_b32 s31, s33
	s_cbranch_execz .LBB0_53
; %bb.52:                               ;   in Loop: Header=BB0_9 Depth=1
	s_add_co_i32 s33, s30, 1
	s_delay_alu instid0(SALU_CYCLE_1) | instskip(SKIP_1) | instid1(SALU_CYCLE_1)
	v_mad_u32 v27, s33, s10, v17
	s_lshl_b32 s33, s30, 3
	s_add_co_i32 s33, s23, s33
	s_delay_alu instid0(SALU_CYCLE_1) | instskip(SKIP_4) | instid1(VALU_DEP_1)
	v_mov_b32_e32 v10, s33
	ds_load_b64 v[10:11], v10 offset:8
	global_load_b64 v[8:9], v27, s[20:21] scale_offset
	s_wait_dscnt 0x0
	v_pk_mul_f32 v[12:13], v[6:7], v[10:11] op_sel:[1,1] op_sel_hi:[1,0]
	v_pk_fma_f32 v[14:15], v[6:7], v[10:11], v[12:13] op_sel_hi:[0,1,1]
	v_pk_fma_f32 v[6:7], v[6:7], v[10:11], v[12:13] neg_lo:[0,0,1] neg_hi:[0,0,1]
	s_delay_alu instid0(VALU_DEP_2) | instskip(SKIP_1) | instid1(VALU_DEP_1)
	v_mov_b32_e32 v7, v15
	s_wait_loadcnt 0x0
	v_pk_add_f32 v[6:7], v[8:9], v[6:7] neg_lo:[0,1] neg_hi:[0,1]
	s_delay_alu instid0(VALU_DEP_1) | instskip(SKIP_4) | instid1(VALU_DEP_1)
	v_cmp_gt_f32_e32 vcc_lo, 0, v7
	global_store_b64 v27, v[6:7], s[20:21] scale_offset
	v_cndmask_b32_e64 v8, v7, -v7, vcc_lo
	v_cmp_gt_f32_e32 vcc_lo, 0, v6
	v_cndmask_b32_e64 v9, v6, -v6, vcc_lo
	v_add_f32_e32 v18, v9, v8
	ds_store_b64 v21, v[6:7]
	ds_store_b32 v19, v18
.LBB0_53:                               ;   in Loop: Header=BB0_9 Depth=1
	s_wait_xcnt 0x0
	s_or_b32 exec_lo, exec_lo, s31
	s_delay_alu instid0(SALU_CYCLE_1) | instskip(SKIP_1) | instid1(SALU_CYCLE_1)
	s_or_b32 exec_lo, exec_lo, s5
	s_and_b32 s5, s2, s4
	s_and_saveexec_b32 s4, s5
	s_cbranch_execz .LBB0_47
.LBB0_54:                               ;   in Loop: Header=BB0_9 Depth=1
	v_mov_b32_e32 v18, 0
	ds_store_b64 v21, v[4:5]
	ds_store_b32 v19, v1
	s_or_b32 exec_lo, exec_lo, s4
	s_and_saveexec_b32 s4, s2
	s_cbranch_execz .LBB0_8
.LBB0_55:                               ;   in Loop: Header=BB0_9 Depth=1
	ds_store_b32 v20, v17
	s_branch .LBB0_8
.LBB0_56:
	s_mov_b32 s8, 0
.LBB0_57:
	s_wait_xcnt 0x0
	s_mov_b32 s1, 0
	s_mov_b32 s0, exec_lo
	v_cmpx_eq_u32_e32 0, v17
	s_cbranch_execz .LBB0_60
; %bb.58:
	v_mov_b32_e32 v0, s12
	s_cmp_gt_i32 s8, 0
	s_cselect_b32 s0, -1, 0
	global_load_b32 v0, v0, s[14:15] scale_offset
	s_wait_loadcnt 0x0
	v_or_b32_e32 v0, v0, v16
	s_delay_alu instid0(VALU_DEP_1) | instskip(SKIP_1) | instid1(SALU_CYCLE_1)
	v_cmp_eq_u32_e32 vcc_lo, 0, v0
	s_and_b32 s0, vcc_lo, s0
	s_and_b32 exec_lo, exec_lo, s0
	s_cbranch_execz .LBB0_60
; %bb.59:
	s_wait_kmcnt 0x0
	s_add_co_i32 s0, s8, s25
	s_delay_alu instid0(SALU_CYCLE_1) | instskip(SKIP_1) | instid1(SALU_CYCLE_1)
	v_dual_mov_b32 v0, 0 :: v_dual_mov_b32 v1, s0
	s_lshl_b32 s0, s12, 2
	s_add_nc_u64 s[0:1], s[14:15], s[0:1]
	global_store_b32 v0, v1, s[0:1]
.LBB0_60:
	s_endpgm
	.section	.rodata,"a",@progbits
	.p2align	6, 0x0
	.amdhsa_kernel _ZN9rocsolver6v33100L18getf2_panel_kernelI19rocblas_complex_numIfEiiPS3_EEvT0_S5_T2_lS5_lPS5_llPT1_S5_S5_S7_l
		.amdhsa_group_segment_fixed_size 8
		.amdhsa_private_segment_fixed_size 0
		.amdhsa_kernarg_size 352
		.amdhsa_user_sgpr_count 2
		.amdhsa_user_sgpr_dispatch_ptr 0
		.amdhsa_user_sgpr_queue_ptr 0
		.amdhsa_user_sgpr_kernarg_segment_ptr 1
		.amdhsa_user_sgpr_dispatch_id 0
		.amdhsa_user_sgpr_kernarg_preload_length 0
		.amdhsa_user_sgpr_kernarg_preload_offset 0
		.amdhsa_user_sgpr_private_segment_size 0
		.amdhsa_wavefront_size32 1
		.amdhsa_uses_dynamic_stack 0
		.amdhsa_enable_private_segment 0
		.amdhsa_system_sgpr_workgroup_id_x 1
		.amdhsa_system_sgpr_workgroup_id_y 0
		.amdhsa_system_sgpr_workgroup_id_z 1
		.amdhsa_system_sgpr_workgroup_info 0
		.amdhsa_system_vgpr_workitem_id 1
		.amdhsa_next_free_vgpr 36
		.amdhsa_next_free_sgpr 36
		.amdhsa_named_barrier_count 0
		.amdhsa_reserve_vcc 1
		.amdhsa_float_round_mode_32 0
		.amdhsa_float_round_mode_16_64 0
		.amdhsa_float_denorm_mode_32 3
		.amdhsa_float_denorm_mode_16_64 3
		.amdhsa_fp16_overflow 0
		.amdhsa_memory_ordered 1
		.amdhsa_forward_progress 1
		.amdhsa_inst_pref_size 22
		.amdhsa_round_robin_scheduling 0
		.amdhsa_exception_fp_ieee_invalid_op 0
		.amdhsa_exception_fp_denorm_src 0
		.amdhsa_exception_fp_ieee_div_zero 0
		.amdhsa_exception_fp_ieee_overflow 0
		.amdhsa_exception_fp_ieee_underflow 0
		.amdhsa_exception_fp_ieee_inexact 0
		.amdhsa_exception_int_div_zero 0
	.end_amdhsa_kernel
	.section	.text._ZN9rocsolver6v33100L18getf2_panel_kernelI19rocblas_complex_numIfEiiPS3_EEvT0_S5_T2_lS5_lPS5_llPT1_S5_S5_S7_l,"axG",@progbits,_ZN9rocsolver6v33100L18getf2_panel_kernelI19rocblas_complex_numIfEiiPS3_EEvT0_S5_T2_lS5_lPS5_llPT1_S5_S5_S7_l,comdat
.Lfunc_end0:
	.size	_ZN9rocsolver6v33100L18getf2_panel_kernelI19rocblas_complex_numIfEiiPS3_EEvT0_S5_T2_lS5_lPS5_llPT1_S5_S5_S7_l, .Lfunc_end0-_ZN9rocsolver6v33100L18getf2_panel_kernelI19rocblas_complex_numIfEiiPS3_EEvT0_S5_T2_lS5_lPS5_llPT1_S5_S5_S7_l
                                        ; -- End function
	.set _ZN9rocsolver6v33100L18getf2_panel_kernelI19rocblas_complex_numIfEiiPS3_EEvT0_S5_T2_lS5_lPS5_llPT1_S5_S5_S7_l.num_vgpr, 36
	.set _ZN9rocsolver6v33100L18getf2_panel_kernelI19rocblas_complex_numIfEiiPS3_EEvT0_S5_T2_lS5_lPS5_llPT1_S5_S5_S7_l.num_agpr, 0
	.set _ZN9rocsolver6v33100L18getf2_panel_kernelI19rocblas_complex_numIfEiiPS3_EEvT0_S5_T2_lS5_lPS5_llPT1_S5_S5_S7_l.numbered_sgpr, 36
	.set _ZN9rocsolver6v33100L18getf2_panel_kernelI19rocblas_complex_numIfEiiPS3_EEvT0_S5_T2_lS5_lPS5_llPT1_S5_S5_S7_l.num_named_barrier, 0
	.set _ZN9rocsolver6v33100L18getf2_panel_kernelI19rocblas_complex_numIfEiiPS3_EEvT0_S5_T2_lS5_lPS5_llPT1_S5_S5_S7_l.private_seg_size, 0
	.set _ZN9rocsolver6v33100L18getf2_panel_kernelI19rocblas_complex_numIfEiiPS3_EEvT0_S5_T2_lS5_lPS5_llPT1_S5_S5_S7_l.uses_vcc, 1
	.set _ZN9rocsolver6v33100L18getf2_panel_kernelI19rocblas_complex_numIfEiiPS3_EEvT0_S5_T2_lS5_lPS5_llPT1_S5_S5_S7_l.uses_flat_scratch, 0
	.set _ZN9rocsolver6v33100L18getf2_panel_kernelI19rocblas_complex_numIfEiiPS3_EEvT0_S5_T2_lS5_lPS5_llPT1_S5_S5_S7_l.has_dyn_sized_stack, 0
	.set _ZN9rocsolver6v33100L18getf2_panel_kernelI19rocblas_complex_numIfEiiPS3_EEvT0_S5_T2_lS5_lPS5_llPT1_S5_S5_S7_l.has_recursion, 0
	.set _ZN9rocsolver6v33100L18getf2_panel_kernelI19rocblas_complex_numIfEiiPS3_EEvT0_S5_T2_lS5_lPS5_llPT1_S5_S5_S7_l.has_indirect_call, 0
	.section	.AMDGPU.csdata,"",@progbits
; Kernel info:
; codeLenInByte = 2812
; TotalNumSgprs: 38
; NumVgprs: 36
; ScratchSize: 0
; MemoryBound: 0
; FloatMode: 240
; IeeeMode: 1
; LDSByteSize: 8 bytes/workgroup (compile time only)
; SGPRBlocks: 0
; VGPRBlocks: 2
; NumSGPRsForWavesPerEU: 38
; NumVGPRsForWavesPerEU: 36
; NamedBarCnt: 0
; Occupancy: 16
; WaveLimiterHint : 0
; COMPUTE_PGM_RSRC2:SCRATCH_EN: 0
; COMPUTE_PGM_RSRC2:USER_SGPR: 2
; COMPUTE_PGM_RSRC2:TRAP_HANDLER: 0
; COMPUTE_PGM_RSRC2:TGID_X_EN: 1
; COMPUTE_PGM_RSRC2:TGID_Y_EN: 0
; COMPUTE_PGM_RSRC2:TGID_Z_EN: 1
; COMPUTE_PGM_RSRC2:TIDIG_COMP_CNT: 1
	.section	.text._ZN9rocsolver6v33100L23getf2_npvt_panel_kernelI19rocblas_complex_numIfEiiPS3_EEvT0_S5_T2_lS5_lPT1_S5_S5_,"axG",@progbits,_ZN9rocsolver6v33100L23getf2_npvt_panel_kernelI19rocblas_complex_numIfEiiPS3_EEvT0_S5_T2_lS5_lPT1_S5_S5_,comdat
	.globl	_ZN9rocsolver6v33100L23getf2_npvt_panel_kernelI19rocblas_complex_numIfEiiPS3_EEvT0_S5_T2_lS5_lPT1_S5_S5_ ; -- Begin function _ZN9rocsolver6v33100L23getf2_npvt_panel_kernelI19rocblas_complex_numIfEiiPS3_EEvT0_S5_T2_lS5_lPT1_S5_S5_
	.p2align	8
	.type	_ZN9rocsolver6v33100L23getf2_npvt_panel_kernelI19rocblas_complex_numIfEiiPS3_EEvT0_S5_T2_lS5_lPT1_S5_S5_,@function
_ZN9rocsolver6v33100L23getf2_npvt_panel_kernelI19rocblas_complex_numIfEiiPS3_EEvT0_S5_T2_lS5_lPT1_S5_S5_: ; @_ZN9rocsolver6v33100L23getf2_npvt_panel_kernelI19rocblas_complex_numIfEiiPS3_EEvT0_S5_T2_lS5_lPT1_S5_S5_
; %bb.0:
	s_clause 0x3
	s_load_b128 s[4:7], s[0:1], 0x20
	s_load_b128 s[12:15], s[0:1], 0x8
	s_load_b64 s[10:11], s[0:1], 0x0
	s_load_b32 s3, s[0:1], 0x44
	s_bfe_u32 s2, ttmp6, 0x40014
	s_lshr_b32 s8, ttmp7, 16
	s_add_co_i32 s2, s2, 1
	s_bfe_u32 s16, ttmp6, 0x40008
	s_mul_i32 s2, s8, s2
	s_getreg_b32 s17, hwreg(HW_REG_IB_STS2, 6, 4)
	s_add_co_i32 s16, s16, s2
	s_cmp_eq_u32 s17, 0
	s_mov_b32 s9, 0
	v_bfe_u32 v8, v0, 10, 10
	s_cselect_b32 s8, s8, s16
	v_and_b32_e32 v9, 0x3ff, v0
	s_delay_alu instid0(VALU_DEP_2) | instskip(SKIP_2) | instid1(SALU_CYCLE_1)
	v_cmp_eq_u32_e64 s2, 0, v8
	s_wait_kmcnt 0x0
	s_mul_u64 s[4:5], s[4:5], s[8:9]
	s_lshl_b64 s[4:5], s[4:5], 3
	s_delay_alu instid0(SALU_CYCLE_1) | instskip(SKIP_1) | instid1(SALU_CYCLE_1)
	s_add_nc_u64 s[4:5], s[12:13], s[4:5]
	s_lshl_b64 s[12:13], s[14:15], 3
	s_add_nc_u64 s[4:5], s[4:5], s[12:13]
	s_and_saveexec_b32 s9, s2
	s_cbranch_execz .LBB1_4
; %bb.1:
	v_dual_mov_b32 v0, 0 :: v_dual_mov_b32 v1, 0
	s_mov_b32 s12, exec_lo
	v_cmpx_gt_i32_e64 s10, v9
	s_cbranch_execz .LBB1_3
; %bb.2:
	global_load_b64 v[0:1], v9, s[4:5] scale_offset
.LBB1_3:
	s_wait_xcnt 0x0
	s_or_b32 exec_lo, exec_lo, s12
	v_lshl_add_u32 v2, v9, 3, 0
	s_wait_loadcnt 0x0
	ds_store_b64 v2, v[0:1]
.LBB1_4:
	s_or_b32 exec_lo, exec_lo, s9
	s_cmp_lt_i32 s11, 1
	s_cbranch_scc1 .LBB1_29
; %bb.5:
	s_load_b32 s14, s[0:1], 0x18
	v_dual_lshlrev_b32 v0, 3, v9 :: v_dual_add_nc_u32 v10, 2, v8
	s_and_b32 s12, s3, 0xffff
	s_lshr_b32 s15, s3, 16
	v_cmp_gt_i32_e64 s3, s10, v9
	s_lshl_b32 s10, s12, 3
	v_lshlrev_b32_e32 v2, 3, v8
	s_add_co_i32 s10, s10, 0
	v_cmp_gt_u32_e32 vcc_lo, s11, v9
	v_dual_add_nc_u32 v11, 0, v0 :: v_dual_add_nc_u32 v14, s10, v0
	v_mov_b64_e32 v[0:1], 0
	v_add3_u32 v15, s10, v2, 16
	s_mov_b32 s9, 0
	s_and_b32 s16, s2, vcc_lo
	s_add_co_i32 s17, s11, -1
	s_lshl_b32 s19, s15, 3
	s_mov_b32 s20, 0
	s_wait_kmcnt 0x0
	v_mul_lo_u32 v12, s14, v9
	v_mad_u32 v13, s14, v10, v9
	s_mul_i32 s18, s14, s15
	s_branch .LBB1_7
.LBB1_6:                                ;   in Loop: Header=BB1_7 Depth=1
	s_or_b32 exec_lo, exec_lo, s12
	v_dual_add_nc_u32 v13, s14, v13 :: v_dual_add_nc_u32 v15, 8, v15
	s_add_co_i32 s20, s20, 1
	s_delay_alu instid0(SALU_CYCLE_1)
	s_cmp_eq_u32 s20, s11
	s_cbranch_scc1 .LBB1_30
.LBB1_7:                                ; =>This Loop Header: Depth=1
                                        ;     Child Loop BB1_21 Depth 2
	s_lshl_b32 s21, s20, 3
	s_wait_dscnt 0x0
	s_add_co_i32 s12, s21, 0
	s_barrier_signal -1
	v_mov_b32_e32 v2, s12
	s_barrier_wait -1
	ds_load_b64 v[2:3], v2
	s_wait_dscnt 0x0
	v_readfirstlane_b32 s12, v2
	v_readfirstlane_b32 s13, v3
	s_cmp_eq_f32 s12, 0
	s_cselect_b32 s22, -1, 0
	s_cmp_eq_f32 s13, 0
	s_cselect_b32 s23, -1, 0
	s_delay_alu instid0(SALU_CYCLE_1) | instskip(SKIP_2) | instid1(SALU_CYCLE_1)
	s_and_b32 s22, s22, s23
	s_cmp_eq_u32 s9, 0
	s_cselect_b32 s23, -1, 0
	s_and_b32 s22, s22, s23
	s_delay_alu instid0(SALU_CYCLE_1)
	s_and_not1_b32 vcc_lo, exec_lo, s22
	s_cbranch_vccz .LBB1_10
; %bb.8:                                ;   in Loop: Header=BB1_7 Depth=1
	s_and_b32 s22, s12, 0x7fffffff
	s_and_b32 s23, s13, 0x7fffffff
	s_delay_alu instid0(SALU_CYCLE_1)
	s_cmp_ngt_f32 s22, s23
	s_cbranch_scc0 .LBB1_11
; %bb.9:                                ;   in Loop: Header=BB1_7 Depth=1
	v_div_scale_f32 v2, null, s13, s13, s12
	v_div_scale_f32 v5, vcc_lo, s12, s13, s12
	s_delay_alu instid0(VALU_DEP_2)
	v_rcp_f32_e32 v3, v2
	v_nop
	v_xor_b32_e32 v2, 0x80000000, v2
	s_delay_alu instid0(TRANS32_DEP_1) | instid1(VALU_DEP_1)
	v_fma_f32 v4, v2, v3, 1.0
	s_delay_alu instid0(VALU_DEP_1) | instskip(NEXT) | instid1(VALU_DEP_1)
	v_fmac_f32_e32 v3, v4, v3
	v_mul_f32_e32 v4, v5, v3
	s_delay_alu instid0(VALU_DEP_1) | instskip(NEXT) | instid1(VALU_DEP_1)
	v_fma_f32 v6, v2, v4, v5
	v_fmac_f32_e32 v4, v6, v3
	s_delay_alu instid0(VALU_DEP_1) | instskip(NEXT) | instid1(VALU_DEP_1)
	v_fmac_f32_e32 v5, v2, v4
	v_div_fmas_f32 v2, v5, v3, v4
	s_delay_alu instid0(VALU_DEP_1) | instskip(NEXT) | instid1(VALU_DEP_1)
	v_div_fixup_f32 v2, v2, s13, s12
	v_fma_f32 v3, s12, v2, s13
	s_delay_alu instid0(VALU_DEP_1) | instskip(SKIP_1) | instid1(VALU_DEP_2)
	v_div_scale_f32 v4, null, v3, v3, 1.0
	v_div_scale_f32 v7, vcc_lo, 1.0, v3, 1.0
	v_rcp_f32_e32 v5, v4
	v_nop
	v_xor_b32_e32 v4, 0x80000000, v4
	s_delay_alu instid0(TRANS32_DEP_1) | instid1(VALU_DEP_1)
	v_fma_f32 v6, v4, v5, 1.0
	s_delay_alu instid0(VALU_DEP_1) | instskip(NEXT) | instid1(VALU_DEP_1)
	v_fmac_f32_e32 v5, v6, v5
	v_mul_f32_e32 v6, v7, v5
	s_delay_alu instid0(VALU_DEP_1) | instskip(NEXT) | instid1(VALU_DEP_1)
	v_fma_f32 v16, v4, v6, v7
	v_fmac_f32_e32 v6, v16, v5
	s_delay_alu instid0(VALU_DEP_1) | instskip(NEXT) | instid1(VALU_DEP_1)
	v_fmac_f32_e32 v7, v4, v6
	v_div_fmas_f32 v4, v7, v5, v6
	s_delay_alu instid0(VALU_DEP_1) | instskip(NEXT) | instid1(VALU_DEP_1)
	v_div_fixup_f32 v3, v4, v3, 1.0
	v_mul_f32_e32 v4, v2, v3
	v_xor_b32_e32 v5, 0x80000000, v3
	s_delay_alu instid0(VALU_DEP_2) | instskip(NEXT) | instid1(VALU_DEP_2)
	v_mov_b32_e32 v2, v4
	v_mov_b64_e32 v[6:7], v[4:5]
	s_cbranch_execz .LBB1_12
	s_branch .LBB1_13
.LBB1_10:                               ;   in Loop: Header=BB1_7 Depth=1
                                        ; implicit-def: $vgpr5
                                        ; implicit-def: $vgpr2
                                        ; implicit-def: $vgpr6_vgpr7
	s_branch .LBB1_14
.LBB1_11:                               ;   in Loop: Header=BB1_7 Depth=1
                                        ; implicit-def: $vgpr5
                                        ; implicit-def: $vgpr2
                                        ; implicit-def: $vgpr6_vgpr7
.LBB1_12:                               ;   in Loop: Header=BB1_7 Depth=1
	v_div_scale_f32 v2, null, s12, s12, s13
	v_div_scale_f32 v5, vcc_lo, s13, s12, s13
	s_delay_alu instid0(VALU_DEP_2)
	v_rcp_f32_e32 v3, v2
	v_nop
	v_xor_b32_e32 v2, 0x80000000, v2
	s_delay_alu instid0(TRANS32_DEP_1) | instid1(VALU_DEP_1)
	v_fma_f32 v4, v2, v3, 1.0
	s_delay_alu instid0(VALU_DEP_1) | instskip(NEXT) | instid1(VALU_DEP_1)
	v_fmac_f32_e32 v3, v4, v3
	v_mul_f32_e32 v4, v5, v3
	s_delay_alu instid0(VALU_DEP_1) | instskip(NEXT) | instid1(VALU_DEP_1)
	v_fma_f32 v6, v2, v4, v5
	v_fmac_f32_e32 v4, v6, v3
	s_delay_alu instid0(VALU_DEP_1) | instskip(NEXT) | instid1(VALU_DEP_1)
	v_fmac_f32_e32 v5, v2, v4
	v_div_fmas_f32 v2, v5, v3, v4
	s_delay_alu instid0(VALU_DEP_1) | instskip(NEXT) | instid1(VALU_DEP_1)
	v_div_fixup_f32 v2, v2, s12, s13
	v_fma_f32 v3, s13, v2, s12
	s_delay_alu instid0(VALU_DEP_1) | instskip(NEXT) | instid1(VALU_DEP_1)
	v_div_scale_f32 v4, null, v3, v3, 1.0
	v_rcp_f32_e32 v5, v4
	v_nop
	v_xor_b32_e32 v4, 0x80000000, v4
	s_delay_alu instid0(TRANS32_DEP_1) | instid1(VALU_DEP_1)
	v_fma_f32 v6, v4, v5, 1.0
	s_delay_alu instid0(VALU_DEP_1) | instskip(SKIP_1) | instid1(VALU_DEP_1)
	v_fmac_f32_e32 v5, v6, v5
	v_div_scale_f32 v6, vcc_lo, 1.0, v3, 1.0
	v_mul_f32_e32 v7, v6, v5
	s_delay_alu instid0(VALU_DEP_1) | instskip(NEXT) | instid1(VALU_DEP_1)
	v_fma_f32 v16, v4, v7, v6
	v_fmac_f32_e32 v7, v16, v5
	s_delay_alu instid0(VALU_DEP_1) | instskip(NEXT) | instid1(VALU_DEP_1)
	v_fmac_f32_e32 v6, v4, v7
	v_div_fmas_f32 v4, v6, v5, v7
	s_delay_alu instid0(VALU_DEP_1) | instskip(NEXT) | instid1(VALU_DEP_1)
	v_div_fixup_f32 v4, v4, v3, 1.0
	v_xor_b32_e32 v3, 0x80000000, v4
	s_delay_alu instid0(VALU_DEP_1) | instskip(NEXT) | instid1(VALU_DEP_1)
	v_dual_mul_f32 v5, v2, v3 :: v_dual_mov_b32 v2, v4
	v_mov_b64_e32 v[6:7], v[4:5]
.LBB1_13:                               ;   in Loop: Header=BB1_7 Depth=1
	s_cbranch_execnz .LBB1_15
.LBB1_14:                               ;   in Loop: Header=BB1_7 Depth=1
	v_mov_b64_e32 v[6:7], s[12:13]
	v_dual_mov_b32 v2, s12 :: v_dual_mov_b32 v5, s13
	s_add_co_i32 s9, s20, 1
.LBB1_15:                               ;   in Loop: Header=BB1_7 Depth=1
	s_mov_b32 s12, exec_lo
	v_cmpx_ne_u32_e64 s20, v9
	s_cbranch_execnz .LBB1_26
; %bb.16:                               ;   in Loop: Header=BB1_7 Depth=1
	s_or_b32 exec_lo, exec_lo, s12
	s_and_saveexec_b32 s12, s16
	s_cbranch_execz .LBB1_18
.LBB1_17:                               ;   in Loop: Header=BB1_7 Depth=1
	v_add_nc_u32_e32 v3, s20, v12
	global_load_b64 v[6:7], v3, s[4:5] scale_offset
	s_wait_loadcnt 0x0
	ds_store_b64 v14, v[6:7]
.LBB1_18:                               ;   in Loop: Header=BB1_7 Depth=1
	s_wait_xcnt 0x0
	s_or_b32 exec_lo, exec_lo, s12
	v_cmp_lt_u32_e32 vcc_lo, s20, v9
	s_wait_storecnt_dscnt 0x0
	s_barrier_signal -1
	s_barrier_wait -1
	s_and_b32 s13, s3, vcc_lo
	s_delay_alu instid0(SALU_CYCLE_1)
	s_and_saveexec_b32 s12, s13
	s_cbranch_execz .LBB1_24
; %bb.19:                               ;   in Loop: Header=BB1_7 Depth=1
	v_dual_mov_b32 v3, v5 :: v_dual_add_nc_u32 v16, s20, v10
	s_mov_b32 s13, exec_lo
	s_delay_alu instid0(VALU_DEP_1)
	v_cmpx_gt_i32_e64 s11, v16
	s_cbranch_execz .LBB1_22
; %bb.20:                               ;   in Loop: Header=BB1_7 Depth=1
	s_delay_alu instid0(VALU_DEP_2)
	v_dual_mov_b32 v4, v5 :: v_dual_mov_b32 v5, v3
	v_dual_mov_b32 v6, v2 :: v_dual_mov_b32 v7, v2
	;; [unrolled: 1-line block ×3, first 2 shown]
	s_mov_b32 s22, 0
.LBB1_21:                               ;   Parent Loop BB1_7 Depth=1
                                        ; =>  This Inner Loop Header: Depth=2
	global_load_b64 v[20:21], v18, s[4:5] scale_offset
	ds_load_b64 v[22:23], v17
	v_dual_add_nc_u32 v16, s15, v16 :: v_dual_add_nc_u32 v17, s19, v17
	s_delay_alu instid0(VALU_DEP_1) | instskip(SKIP_3) | instid1(VALU_DEP_1)
	v_cmp_le_i32_e32 vcc_lo, s11, v16
	s_or_b32 s22, vcc_lo, s22
	s_wait_dscnt 0x0
	v_pk_mul_f32 v[24:25], v[4:5], v[22:23] op_sel:[0,1] op_sel_hi:[1,0]
	v_pk_fma_f32 v[26:27], v[6:7], v[22:23], v[24:25]
	v_pk_fma_f32 v[22:23], v[6:7], v[22:23], v[24:25] neg_lo:[0,0,1] neg_hi:[0,0,1]
	s_delay_alu instid0(VALU_DEP_2) | instskip(SKIP_1) | instid1(VALU_DEP_1)
	v_mov_b32_e32 v23, v27
	s_wait_loadcnt 0x0
	v_pk_add_f32 v[20:21], v[20:21], v[22:23] neg_lo:[0,1] neg_hi:[0,1]
	global_store_b64 v18, v[20:21], s[4:5] scale_offset
	s_wait_xcnt 0x0
	v_add_nc_u32_e32 v18, s18, v18
	s_and_not1_b32 exec_lo, exec_lo, s22
	s_cbranch_execnz .LBB1_21
.LBB1_22:                               ;   in Loop: Header=BB1_7 Depth=1
	s_or_b32 exec_lo, exec_lo, s13
	s_cmp_lt_i32 s20, s17
	s_cselect_b32 s13, -1, 0
	s_delay_alu instid0(SALU_CYCLE_1) | instskip(NEXT) | instid1(SALU_CYCLE_1)
	s_and_b32 s13, s2, s13
	s_and_b32 exec_lo, exec_lo, s13
	s_cbranch_execz .LBB1_24
; %bb.23:                               ;   in Loop: Header=BB1_7 Depth=1
	s_add_co_i32 s13, s20, 1
	s_delay_alu instid0(SALU_CYCLE_1) | instskip(SKIP_1) | instid1(SALU_CYCLE_1)
	v_mad_u32 v20, s13, s14, v9
	s_add_co_i32 s13, s10, s21
	v_mov_b32_e32 v6, s13
	ds_load_b64 v[6:7], v6 offset:8
	global_load_b64 v[4:5], v20, s[4:5] scale_offset
	s_wait_dscnt 0x0
	v_pk_mul_f32 v[16:17], v[2:3], v[6:7] op_sel:[1,1] op_sel_hi:[1,0]
	s_delay_alu instid0(VALU_DEP_1) | instskip(SKIP_1) | instid1(VALU_DEP_2)
	v_pk_fma_f32 v[18:19], v[2:3], v[6:7], v[16:17] op_sel_hi:[0,1,1]
	v_pk_fma_f32 v[2:3], v[2:3], v[6:7], v[16:17] neg_lo:[0,0,1] neg_hi:[0,0,1]
	v_mov_b32_e32 v3, v19
	s_wait_loadcnt 0x0
	s_delay_alu instid0(VALU_DEP_1)
	v_pk_add_f32 v[2:3], v[4:5], v[2:3] neg_lo:[0,1] neg_hi:[0,1]
	global_store_b64 v20, v[2:3], s[4:5] scale_offset
	ds_store_b64 v11, v[2:3]
.LBB1_24:                               ;   in Loop: Header=BB1_7 Depth=1
	s_wait_xcnt 0x0
	s_or_b32 exec_lo, exec_lo, s12
	v_cmp_ge_u32_e32 vcc_lo, s20, v9
	s_and_b32 s13, s2, vcc_lo
	s_delay_alu instid0(SALU_CYCLE_1)
	s_and_saveexec_b32 s12, s13
	s_cbranch_execz .LBB1_6
; %bb.25:                               ;   in Loop: Header=BB1_7 Depth=1
	ds_store_b64 v11, v[0:1]
	s_branch .LBB1_6
.LBB1_26:                               ;   in Loop: Header=BB1_7 Depth=1
	ds_load_b64 v[2:3], v11
	v_cmp_le_u32_e32 vcc_lo, s20, v9
	s_and_b32 s13, s2, vcc_lo
	s_delay_alu instid0(SALU_CYCLE_1) | instskip(SKIP_2) | instid1(VALU_DEP_1)
	s_and_b32 s22, s3, s13
	s_wait_dscnt 0x0
	v_pk_mul_f32 v[16:17], v[6:7], v[2:3] op_sel:[1,1] op_sel_hi:[1,0]
	v_pk_fma_f32 v[4:5], v[6:7], v[2:3], v[16:17] op_sel_hi:[0,1,1]
	v_pk_fma_f32 v[2:3], v[6:7], v[2:3], v[16:17] op_sel_hi:[0,1,1] neg_lo:[0,0,1] neg_hi:[0,0,1]
	s_and_saveexec_b32 s13, s22
	s_cbranch_execz .LBB1_28
; %bb.27:                               ;   in Loop: Header=BB1_7 Depth=1
	v_mad_u32 v4, s20, s14, v9
	v_mov_b32_e32 v3, v5
	global_store_b64 v4, v[2:3], s[4:5] scale_offset
.LBB1_28:                               ;   in Loop: Header=BB1_7 Depth=1
	s_wait_xcnt 0x0
	s_or_b32 exec_lo, exec_lo, s13
	s_delay_alu instid0(SALU_CYCLE_1)
	s_or_b32 exec_lo, exec_lo, s12
	s_and_saveexec_b32 s12, s16
	s_cbranch_execnz .LBB1_17
	s_branch .LBB1_18
.LBB1_29:
	s_mov_b32 s9, 0
.LBB1_30:
	s_mov_b32 s3, 0
	s_mov_b32 s2, exec_lo
	v_cmpx_eq_u32_e32 0, v9
	s_cbranch_execz .LBB1_33
; %bb.31:
	v_mov_b32_e32 v0, s8
	s_cmp_gt_i32 s9, 0
	s_cselect_b32 s2, -1, 0
	global_load_b32 v0, v0, s[6:7] scale_offset
	s_wait_loadcnt 0x0
	v_or_b32_e32 v0, v0, v8
	s_delay_alu instid0(VALU_DEP_1) | instskip(SKIP_1) | instid1(SALU_CYCLE_1)
	v_cmp_eq_u32_e32 vcc_lo, 0, v0
	s_and_b32 s2, vcc_lo, s2
	s_and_b32 exec_lo, exec_lo, s2
	s_cbranch_execz .LBB1_33
; %bb.32:
	s_load_b32 s0, s[0:1], 0x34
	s_lshl_b32 s2, s8, 2
	s_wait_kmcnt 0x0
	s_add_co_i32 s0, s9, s0
	s_delay_alu instid0(SALU_CYCLE_1)
	v_dual_mov_b32 v0, 0 :: v_dual_mov_b32 v1, s0
	s_add_nc_u64 s[0:1], s[6:7], s[2:3]
	global_store_b32 v0, v1, s[0:1]
.LBB1_33:
	s_endpgm
	.section	.rodata,"a",@progbits
	.p2align	6, 0x0
	.amdhsa_kernel _ZN9rocsolver6v33100L23getf2_npvt_panel_kernelI19rocblas_complex_numIfEiiPS3_EEvT0_S5_T2_lS5_lPT1_S5_S5_
		.amdhsa_group_segment_fixed_size 0
		.amdhsa_private_segment_fixed_size 0
		.amdhsa_kernarg_size 312
		.amdhsa_user_sgpr_count 2
		.amdhsa_user_sgpr_dispatch_ptr 0
		.amdhsa_user_sgpr_queue_ptr 0
		.amdhsa_user_sgpr_kernarg_segment_ptr 1
		.amdhsa_user_sgpr_dispatch_id 0
		.amdhsa_user_sgpr_kernarg_preload_length 0
		.amdhsa_user_sgpr_kernarg_preload_offset 0
		.amdhsa_user_sgpr_private_segment_size 0
		.amdhsa_wavefront_size32 1
		.amdhsa_uses_dynamic_stack 0
		.amdhsa_enable_private_segment 0
		.amdhsa_system_sgpr_workgroup_id_x 1
		.amdhsa_system_sgpr_workgroup_id_y 0
		.amdhsa_system_sgpr_workgroup_id_z 1
		.amdhsa_system_sgpr_workgroup_info 0
		.amdhsa_system_vgpr_workitem_id 1
		.amdhsa_next_free_vgpr 28
		.amdhsa_next_free_sgpr 24
		.amdhsa_named_barrier_count 0
		.amdhsa_reserve_vcc 1
		.amdhsa_float_round_mode_32 0
		.amdhsa_float_round_mode_16_64 0
		.amdhsa_float_denorm_mode_32 3
		.amdhsa_float_denorm_mode_16_64 3
		.amdhsa_fp16_overflow 0
		.amdhsa_memory_ordered 1
		.amdhsa_forward_progress 1
		.amdhsa_inst_pref_size 14
		.amdhsa_round_robin_scheduling 0
		.amdhsa_exception_fp_ieee_invalid_op 0
		.amdhsa_exception_fp_denorm_src 0
		.amdhsa_exception_fp_ieee_div_zero 0
		.amdhsa_exception_fp_ieee_overflow 0
		.amdhsa_exception_fp_ieee_underflow 0
		.amdhsa_exception_fp_ieee_inexact 0
		.amdhsa_exception_int_div_zero 0
	.end_amdhsa_kernel
	.section	.text._ZN9rocsolver6v33100L23getf2_npvt_panel_kernelI19rocblas_complex_numIfEiiPS3_EEvT0_S5_T2_lS5_lPT1_S5_S5_,"axG",@progbits,_ZN9rocsolver6v33100L23getf2_npvt_panel_kernelI19rocblas_complex_numIfEiiPS3_EEvT0_S5_T2_lS5_lPT1_S5_S5_,comdat
.Lfunc_end1:
	.size	_ZN9rocsolver6v33100L23getf2_npvt_panel_kernelI19rocblas_complex_numIfEiiPS3_EEvT0_S5_T2_lS5_lPT1_S5_S5_, .Lfunc_end1-_ZN9rocsolver6v33100L23getf2_npvt_panel_kernelI19rocblas_complex_numIfEiiPS3_EEvT0_S5_T2_lS5_lPT1_S5_S5_
                                        ; -- End function
	.set _ZN9rocsolver6v33100L23getf2_npvt_panel_kernelI19rocblas_complex_numIfEiiPS3_EEvT0_S5_T2_lS5_lPT1_S5_S5_.num_vgpr, 28
	.set _ZN9rocsolver6v33100L23getf2_npvt_panel_kernelI19rocblas_complex_numIfEiiPS3_EEvT0_S5_T2_lS5_lPT1_S5_S5_.num_agpr, 0
	.set _ZN9rocsolver6v33100L23getf2_npvt_panel_kernelI19rocblas_complex_numIfEiiPS3_EEvT0_S5_T2_lS5_lPT1_S5_S5_.numbered_sgpr, 24
	.set _ZN9rocsolver6v33100L23getf2_npvt_panel_kernelI19rocblas_complex_numIfEiiPS3_EEvT0_S5_T2_lS5_lPT1_S5_S5_.num_named_barrier, 0
	.set _ZN9rocsolver6v33100L23getf2_npvt_panel_kernelI19rocblas_complex_numIfEiiPS3_EEvT0_S5_T2_lS5_lPT1_S5_S5_.private_seg_size, 0
	.set _ZN9rocsolver6v33100L23getf2_npvt_panel_kernelI19rocblas_complex_numIfEiiPS3_EEvT0_S5_T2_lS5_lPT1_S5_S5_.uses_vcc, 1
	.set _ZN9rocsolver6v33100L23getf2_npvt_panel_kernelI19rocblas_complex_numIfEiiPS3_EEvT0_S5_T2_lS5_lPT1_S5_S5_.uses_flat_scratch, 0
	.set _ZN9rocsolver6v33100L23getf2_npvt_panel_kernelI19rocblas_complex_numIfEiiPS3_EEvT0_S5_T2_lS5_lPT1_S5_S5_.has_dyn_sized_stack, 0
	.set _ZN9rocsolver6v33100L23getf2_npvt_panel_kernelI19rocblas_complex_numIfEiiPS3_EEvT0_S5_T2_lS5_lPT1_S5_S5_.has_recursion, 0
	.set _ZN9rocsolver6v33100L23getf2_npvt_panel_kernelI19rocblas_complex_numIfEiiPS3_EEvT0_S5_T2_lS5_lPT1_S5_S5_.has_indirect_call, 0
	.section	.AMDGPU.csdata,"",@progbits
; Kernel info:
; codeLenInByte = 1712
; TotalNumSgprs: 26
; NumVgprs: 28
; ScratchSize: 0
; MemoryBound: 0
; FloatMode: 240
; IeeeMode: 1
; LDSByteSize: 0 bytes/workgroup (compile time only)
; SGPRBlocks: 0
; VGPRBlocks: 1
; NumSGPRsForWavesPerEU: 26
; NumVGPRsForWavesPerEU: 28
; NamedBarCnt: 0
; Occupancy: 16
; WaveLimiterHint : 0
; COMPUTE_PGM_RSRC2:SCRATCH_EN: 0
; COMPUTE_PGM_RSRC2:USER_SGPR: 2
; COMPUTE_PGM_RSRC2:TRAP_HANDLER: 0
; COMPUTE_PGM_RSRC2:TGID_X_EN: 1
; COMPUTE_PGM_RSRC2:TGID_Y_EN: 0
; COMPUTE_PGM_RSRC2:TGID_Z_EN: 1
; COMPUTE_PGM_RSRC2:TIDIG_COMP_CNT: 1
	.section	.text._ZN9rocsolver6v33100L18getf2_panel_kernelI19rocblas_complex_numIfEiiPKPS3_EEvT0_S7_T2_lS7_lPS7_llPT1_S7_S7_S9_l,"axG",@progbits,_ZN9rocsolver6v33100L18getf2_panel_kernelI19rocblas_complex_numIfEiiPKPS3_EEvT0_S7_T2_lS7_lPS7_llPT1_S7_S7_S9_l,comdat
	.globl	_ZN9rocsolver6v33100L18getf2_panel_kernelI19rocblas_complex_numIfEiiPKPS3_EEvT0_S7_T2_lS7_lPS7_llPT1_S7_S7_S9_l ; -- Begin function _ZN9rocsolver6v33100L18getf2_panel_kernelI19rocblas_complex_numIfEiiPKPS3_EEvT0_S7_T2_lS7_lPS7_llPT1_S7_S7_S9_l
	.p2align	8
	.type	_ZN9rocsolver6v33100L18getf2_panel_kernelI19rocblas_complex_numIfEiiPKPS3_EEvT0_S7_T2_lS7_lPS7_llPT1_S7_S7_S9_l,@function
_ZN9rocsolver6v33100L18getf2_panel_kernelI19rocblas_complex_numIfEiiPKPS3_EEvT0_S7_T2_lS7_lPS7_llPT1_S7_S7_S9_l: ; @_ZN9rocsolver6v33100L18getf2_panel_kernelI19rocblas_complex_numIfEiiPKPS3_EEvT0_S7_T2_lS7_lPS7_llPT1_S7_S7_S9_l
; %bb.0:
	s_clause 0x1
	s_load_b128 s[4:7], s[0:1], 0x8
	s_load_b128 s[8:11], s[0:1], 0x50
	s_bfe_u32 s2, ttmp6, 0x40014
	s_lshr_b32 s3, ttmp7, 16
	s_add_co_i32 s2, s2, 1
	s_bfe_u32 s12, ttmp6, 0x40008
	s_mul_i32 s2, s3, s2
	s_getreg_b32 s13, hwreg(HW_REG_IB_STS2, 6, 4)
	s_add_co_i32 s12, s12, s2
	s_cmp_eq_u32 s13, 0
	s_mov_b32 s13, 0
	s_cselect_b32 s12, s3, s12
	s_mov_b64 s[14:15], 0
	s_load_b32 s3, s[0:1], 0x6c
	s_wait_kmcnt 0x0
	s_load_b64 s[18:19], s[4:5], s12 offset:0x0 scale_offset
	s_cmp_eq_u64 s[8:9], 0
	s_cselect_b32 s20, -1, 0
	s_delay_alu instid0(SALU_CYCLE_1)
	s_and_b32 vcc_lo, exec_lo, s20
	s_cbranch_vccnz .LBB2_2
; %bb.1:
	s_wait_xcnt 0x0
	s_mul_u64 s[4:5], s[10:11], s[12:13]
	s_delay_alu instid0(SALU_CYCLE_1) | instskip(NEXT) | instid1(SALU_CYCLE_1)
	s_lshl_b64 s[4:5], s[4:5], 2
	s_add_nc_u64 s[14:15], s[8:9], s[4:5]
.LBB2_2:
	s_load_b64 s[16:17], s[0:1], 0x0
	s_and_b32 s25, s3, 0xffff
	v_bfe_u32 v14, v0, 10, 10
	s_lshl_b32 s2, s25, 3
	s_wait_xcnt 0x0
	s_lshl_b64 s[4:5], s[6:7], 3
	s_add_co_i32 s21, s2, 8
	v_and_b32_e32 v15, 0x3ff, v0
	v_cmp_eq_u32_e64 s2, 0, v14
	s_wait_kmcnt 0x0
	s_add_nc_u64 s[18:19], s[18:19], s[4:5]
                                        ; implicit-def: $vgpr16
	s_lshl_b32 s6, s17, 3
	s_delay_alu instid0(SALU_CYCLE_1) | instskip(SKIP_1) | instid1(SALU_CYCLE_1)
	s_add_co_i32 s22, s21, s6
	s_lshl_b32 s6, s25, 2
	s_add_co_i32 s28, s22, s6
	s_and_saveexec_b32 s4, s2
	s_cbranch_execz .LBB2_6
; %bb.3:
	v_dual_mov_b32 v0, 0 :: v_dual_mov_b32 v1, 0
	s_mov_b32 s5, exec_lo
	v_cmpx_gt_i32_e64 s16, v15
	s_cbranch_execz .LBB2_5
; %bb.4:
	flat_load_b64 v[0:1], v15, s[18:19] scale_offset
.LBB2_5:
	s_wait_xcnt 0x0
	s_or_b32 exec_lo, exec_lo, s5
	s_wait_loadcnt_dscnt 0x0
	v_cmp_gt_f32_e32 vcc_lo, 0, v1
	v_lshl_add_u32 v5, v15, 3, 8
	v_cndmask_b32_e64 v2, v1, -v1, vcc_lo
	v_cmp_gt_f32_e32 vcc_lo, 0, v0
	v_dual_cndmask_b32 v3, v0, -v0, vcc_lo :: v_dual_lshlrev_b32 v4, 2, v15
	s_delay_alu instid0(VALU_DEP_1)
	v_dual_add_f32 v16, v3, v2 :: v_dual_add_nc_u32 v2, s22, v4
	v_add_nc_u32_e32 v3, s28, v4
	ds_store_b64 v5, v[0:1]
	ds_store_b32 v2, v16
	ds_store_b32 v3, v15
.LBB2_6:
	s_or_b32 exec_lo, exec_lo, s4
	s_clause 0x1
	s_load_b256 s[4:11], s[0:1], 0x28
	s_load_b32 s23, s[0:1], 0x4c
	s_cmp_lt_i32 s17, 1
	s_cbranch_scc1 .LBB2_54
; %bb.7:
	s_wait_kmcnt 0x0
	s_mul_u64 s[26:27], s[8:9], s[12:13]
	s_load_b32 s9, s[0:1], 0x18
	v_dual_lshlrev_b32 v0, 2, v15 :: v_dual_bitop2_b32 v1, v15, v14 bitop3:0x54
	s_wait_xcnt 0x0
	s_lshl_b64 s[0:1], s[26:27], 2
	v_dual_lshlrev_b32 v2, 3, v15 :: v_dual_add_nc_u32 v21, 2, v14
	s_add_nc_u64 s[0:1], s[4:5], s[0:1]
	s_lshl_b64 s[4:5], s[6:7], 2
	v_lshlrev_b32_e32 v4, 3, v14
	s_add_nc_u64 s[6:7], s[0:1], s[4:5]
	v_cmp_eq_u32_e64 s0, 0, v1
	v_dual_mov_b32 v1, 0 :: v_dual_add_nc_u32 v17, s22, v0
	v_add_nc_u32_e32 v18, s28, v0
	v_cmp_gt_u32_e32 vcc_lo, s17, v15
	v_dual_add_nc_u32 v19, 8, v2 :: v_dual_add_nc_u32 v22, s21, v2
	s_delay_alu instid0(VALU_DEP_4)
	v_add_nc_u64_e32 v[2:3], s[14:15], v[0:1]
	v_add3_u32 v0, s21, v4, 16
	v_mov_b64_e32 v[4:5], 0
	s_wait_kmcnt 0x0
	v_mul_lo_u32 v20, s9, v15
	v_mad_u32 v23, s9, v21, v15
	s_lshr_b32 s13, s3, 16
	s_lshr_b32 s24, s25, 1
	v_cmp_gt_i32_e64 s1, s16, v15
	v_cmp_le_i32_e64 s3, s16, v15
	v_mov_b32_e32 v24, s28
	s_cmp_gt_u32 s25, 1
	s_mov_b32 s8, 0
	s_cselect_b32 s25, -1, 0
	s_add_co_i32 s26, s23, 1
	s_and_b32 s27, s2, vcc_lo
	s_add_co_i32 s16, s17, -1
	s_mul_i32 s28, s9, s13
	s_lshl_b32 s29, s13, 3
	s_mov_b32 s30, 0
	s_branch .LBB2_9
.LBB2_8:                                ;   in Loop: Header=BB2_9 Depth=1
	s_or_b32 exec_lo, exec_lo, s4
	v_dual_add_nc_u32 v23, s9, v23 :: v_dual_add_nc_u32 v0, 8, v0
	s_add_co_i32 s30, s30, 1
	s_delay_alu instid0(SALU_CYCLE_1)
	s_cmp_eq_u32 s30, s17
	s_cbranch_scc1 .LBB2_55
.LBB2_9:                                ; =>This Loop Header: Depth=1
                                        ;     Child Loop BB2_16 Depth 2
                                        ;     Child Loop BB2_48 Depth 2
	v_mov_b32_e32 v6, v15
	s_and_not1_b32 vcc_lo, exec_lo, s25
	s_mov_b32 s5, s24
	s_wait_dscnt 0x0
	s_barrier_signal -1
	s_barrier_wait -1
	s_cbranch_vccnz .LBB2_18
; %bb.10:                               ;   in Loop: Header=BB2_9 Depth=1
	v_cmp_gt_u32_e32 vcc_lo, s5, v15
	s_and_b32 s4, s2, vcc_lo
	s_delay_alu instid0(SALU_CYCLE_1)
	s_and_saveexec_b32 s31, s4
	s_cbranch_execz .LBB2_16
.LBB2_11:                               ;   in Loop: Header=BB2_9 Depth=1
	s_lshl_b32 s4, s5, 2
	s_mov_b32 s34, exec_lo
	v_dual_add_nc_u32 v7, s4, v17 :: v_dual_add_nc_u32 v8, s4, v18
	ds_load_b32 v7, v7
	ds_load_b32 v8, v8
	s_wait_dscnt 0x1
	v_cmp_lt_f32_e64 s33, v16, v7
	v_cmpx_nlt_f32_e32 v16, v7
	s_cbranch_execz .LBB2_13
; %bb.12:                               ;   in Loop: Header=BB2_9 Depth=1
	v_cmp_eq_f32_e32 vcc_lo, v16, v7
	s_wait_dscnt 0x0
	v_cmp_gt_i32_e64 s4, v6, v8
	s_and_not1_b32 s33, s33, exec_lo
	s_and_b32 s4, vcc_lo, s4
	s_delay_alu instid0(SALU_CYCLE_1) | instskip(NEXT) | instid1(SALU_CYCLE_1)
	s_and_b32 s4, s4, exec_lo
	s_or_b32 s33, s33, s4
.LBB2_13:                               ;   in Loop: Header=BB2_9 Depth=1
	s_or_b32 exec_lo, exec_lo, s34
	s_and_saveexec_b32 s4, s33
	s_cbranch_execz .LBB2_15
; %bb.14:                               ;   in Loop: Header=BB2_9 Depth=1
	s_wait_dscnt 0x0
	v_dual_mov_b32 v16, v7 :: v_dual_mov_b32 v6, v8
	ds_store_b32 v17, v7
	ds_store_b32 v18, v8
.LBB2_15:                               ;   in Loop: Header=BB2_9 Depth=1
	s_or_b32 exec_lo, exec_lo, s4
.LBB2_16:                               ;   Parent Loop BB2_9 Depth=1
                                        ; =>  This Inner Loop Header: Depth=2
	s_delay_alu instid0(SALU_CYCLE_1)
	s_or_b32 exec_lo, exec_lo, s31
	s_lshr_b32 s4, s5, 1
	s_cmp_lt_u32 s5, 2
	s_wait_dscnt 0x0
	s_barrier_signal -1
	s_barrier_wait -1
	s_cbranch_scc1 .LBB2_18
; %bb.17:                               ;   in Loop: Header=BB2_16 Depth=2
	s_mov_b32 s5, s4
	s_delay_alu instid0(SALU_CYCLE_1) | instskip(SKIP_1) | instid1(SALU_CYCLE_1)
	v_cmp_gt_u32_e32 vcc_lo, s5, v15
	s_and_b32 s4, s2, vcc_lo
	s_and_saveexec_b32 s31, s4
	s_cbranch_execnz .LBB2_11
	s_branch .LBB2_16
.LBB2_18:                               ;   in Loop: Header=BB2_9 Depth=1
	ds_load_b32 v8, v24
	s_wait_dscnt 0x0
	v_lshlrev_b32_e32 v6, 3, v8
	s_delay_alu instid0(VALU_DEP_1)
	v_add_nc_u32_e32 v6, 8, v6
	ds_load_b64 v[6:7], v6
	s_wait_dscnt 0x0
	v_readfirstlane_b32 s4, v6
	v_readfirstlane_b32 s5, v7
	s_cmp_eq_f32 s4, 0
	s_cselect_b32 s31, -1, 0
	s_cmp_eq_f32 s5, 0
	s_cselect_b32 s33, -1, 0
	s_delay_alu instid0(SALU_CYCLE_1)
	s_and_b32 s33, s31, s33
	v_readfirstlane_b32 s31, v8
	s_and_not1_b32 vcc_lo, exec_lo, s33
	s_cbranch_vccz .LBB2_21
; %bb.19:                               ;   in Loop: Header=BB2_9 Depth=1
	s_and_b32 s33, s4, 0x7fffffff
	s_and_b32 s34, s5, 0x7fffffff
	s_delay_alu instid0(SALU_CYCLE_1)
	s_cmp_ngt_f32 s33, s34
	s_cbranch_scc0 .LBB2_22
; %bb.20:                               ;   in Loop: Header=BB2_9 Depth=1
	v_div_scale_f32 v6, null, s5, s5, s4
	v_div_scale_f32 v9, vcc_lo, s4, s5, s4
	s_delay_alu instid0(VALU_DEP_2)
	v_rcp_f32_e32 v7, v6
	v_nop
	v_xor_b32_e32 v6, 0x80000000, v6
	s_delay_alu instid0(TRANS32_DEP_1) | instid1(VALU_DEP_1)
	v_fma_f32 v8, v6, v7, 1.0
	s_delay_alu instid0(VALU_DEP_1) | instskip(NEXT) | instid1(VALU_DEP_1)
	v_fmac_f32_e32 v7, v8, v7
	v_mul_f32_e32 v8, v9, v7
	s_delay_alu instid0(VALU_DEP_1) | instskip(NEXT) | instid1(VALU_DEP_1)
	v_fma_f32 v10, v6, v8, v9
	v_fmac_f32_e32 v8, v10, v7
	s_delay_alu instid0(VALU_DEP_1) | instskip(NEXT) | instid1(VALU_DEP_1)
	v_fmac_f32_e32 v9, v6, v8
	v_div_fmas_f32 v6, v9, v7, v8
	s_delay_alu instid0(VALU_DEP_1) | instskip(NEXT) | instid1(VALU_DEP_1)
	v_div_fixup_f32 v6, v6, s5, s4
	v_fma_f32 v7, s4, v6, s5
	s_delay_alu instid0(VALU_DEP_1) | instskip(SKIP_1) | instid1(VALU_DEP_2)
	v_div_scale_f32 v8, null, v7, v7, 1.0
	v_div_scale_f32 v11, vcc_lo, 1.0, v7, 1.0
	v_rcp_f32_e32 v9, v8
	v_nop
	v_xor_b32_e32 v8, 0x80000000, v8
	s_delay_alu instid0(TRANS32_DEP_1) | instid1(VALU_DEP_1)
	v_fma_f32 v10, v8, v9, 1.0
	s_delay_alu instid0(VALU_DEP_1) | instskip(NEXT) | instid1(VALU_DEP_1)
	v_fmac_f32_e32 v9, v10, v9
	v_mul_f32_e32 v10, v11, v9
	s_delay_alu instid0(VALU_DEP_1) | instskip(NEXT) | instid1(VALU_DEP_1)
	v_fma_f32 v12, v8, v10, v11
	v_fmac_f32_e32 v10, v12, v9
	s_delay_alu instid0(VALU_DEP_1) | instskip(NEXT) | instid1(VALU_DEP_1)
	v_fmac_f32_e32 v11, v8, v10
	v_div_fmas_f32 v8, v11, v9, v10
	s_delay_alu instid0(VALU_DEP_1) | instskip(NEXT) | instid1(VALU_DEP_1)
	v_div_fixup_f32 v7, v8, v7, 1.0
	v_mul_f32_e32 v6, v6, v7
	v_xor_b32_e32 v7, 0x80000000, v7
	s_delay_alu instid0(VALU_DEP_1)
	v_mov_b64_e32 v[8:9], v[6:7]
	s_cbranch_execz .LBB2_23
	s_branch .LBB2_24
.LBB2_21:                               ;   in Loop: Header=BB2_9 Depth=1
                                        ; implicit-def: $vgpr7
                                        ; implicit-def: $vgpr8_vgpr9
	s_branch .LBB2_25
.LBB2_22:                               ;   in Loop: Header=BB2_9 Depth=1
                                        ; implicit-def: $vgpr7
                                        ; implicit-def: $vgpr8_vgpr9
.LBB2_23:                               ;   in Loop: Header=BB2_9 Depth=1
	v_div_scale_f32 v6, null, s4, s4, s5
	v_div_scale_f32 v9, vcc_lo, s5, s4, s5
	s_delay_alu instid0(VALU_DEP_2)
	v_rcp_f32_e32 v7, v6
	v_nop
	v_xor_b32_e32 v6, 0x80000000, v6
	s_delay_alu instid0(TRANS32_DEP_1) | instid1(VALU_DEP_1)
	v_fma_f32 v8, v6, v7, 1.0
	s_delay_alu instid0(VALU_DEP_1) | instskip(NEXT) | instid1(VALU_DEP_1)
	v_fmac_f32_e32 v7, v8, v7
	v_mul_f32_e32 v8, v9, v7
	s_delay_alu instid0(VALU_DEP_1) | instskip(NEXT) | instid1(VALU_DEP_1)
	v_fma_f32 v10, v6, v8, v9
	v_fmac_f32_e32 v8, v10, v7
	s_delay_alu instid0(VALU_DEP_1) | instskip(NEXT) | instid1(VALU_DEP_1)
	v_fmac_f32_e32 v9, v6, v8
	v_div_fmas_f32 v6, v9, v7, v8
	s_delay_alu instid0(VALU_DEP_1) | instskip(NEXT) | instid1(VALU_DEP_1)
	v_div_fixup_f32 v7, v6, s4, s5
	v_fma_f32 v6, s5, v7, s4
	s_delay_alu instid0(VALU_DEP_1) | instskip(NEXT) | instid1(VALU_DEP_1)
	v_div_scale_f32 v8, null, v6, v6, 1.0
	v_rcp_f32_e32 v9, v8
	v_nop
	v_xor_b32_e32 v8, 0x80000000, v8
	s_delay_alu instid0(TRANS32_DEP_1) | instid1(VALU_DEP_1)
	v_fma_f32 v10, v8, v9, 1.0
	s_delay_alu instid0(VALU_DEP_1) | instskip(SKIP_1) | instid1(VALU_DEP_1)
	v_fmac_f32_e32 v9, v10, v9
	v_div_scale_f32 v10, vcc_lo, 1.0, v6, 1.0
	v_mul_f32_e32 v11, v10, v9
	s_delay_alu instid0(VALU_DEP_1) | instskip(NEXT) | instid1(VALU_DEP_1)
	v_fma_f32 v12, v8, v11, v10
	v_fmac_f32_e32 v11, v12, v9
	s_delay_alu instid0(VALU_DEP_1) | instskip(NEXT) | instid1(VALU_DEP_1)
	v_fmac_f32_e32 v10, v8, v11
	v_div_fmas_f32 v8, v10, v9, v11
	s_delay_alu instid0(VALU_DEP_1) | instskip(NEXT) | instid1(VALU_DEP_1)
	v_div_fixup_f32 v6, v8, v6, 1.0
	v_xor_b32_e32 v8, 0x80000000, v6
	s_delay_alu instid0(VALU_DEP_1) | instskip(NEXT) | instid1(VALU_DEP_1)
	v_mul_f32_e32 v7, v7, v8
	v_mov_b64_e32 v[8:9], v[6:7]
.LBB2_24:                               ;   in Loop: Header=BB2_9 Depth=1
	s_cbranch_execnz .LBB2_26
.LBB2_25:                               ;   in Loop: Header=BB2_9 Depth=1
	v_mov_b64_e32 v[8:9], s[4:5]
	s_add_co_i32 s31, s30, 1
	v_dual_mov_b32 v6, s4 :: v_dual_mov_b32 v7, s5
	s_cmp_eq_u32 s8, 0
	s_cselect_b32 s8, s31, s8
	s_mov_b32 s31, s30
.LBB2_26:                               ;   in Loop: Header=BB2_9 Depth=1
	s_and_saveexec_b32 s4, s0
	s_cbranch_execz .LBB2_28
; %bb.27:                               ;   in Loop: Header=BB2_9 Depth=1
	s_add_co_i32 s5, s26, s31
	s_delay_alu instid0(SALU_CYCLE_1)
	v_dual_mov_b32 v10, s30 :: v_dual_mov_b32 v11, s5
	global_store_b32 v10, v11, s[6:7] scale_offset
.LBB2_28:                               ;   in Loop: Header=BB2_9 Depth=1
	s_wait_xcnt 0x0
	s_or_b32 exec_lo, exec_lo, s4
	s_delay_alu instid0(SALU_CYCLE_1)
	s_mov_b32 s5, exec_lo
	v_cmp_eq_u32_e32 vcc_lo, s31, v15
	v_cmpx_ne_u32_e64 s31, v15
	s_cbranch_execz .LBB2_32
; %bb.29:                               ;   in Loop: Header=BB2_9 Depth=1
	ds_load_b64 v[10:11], v19
	v_cmp_le_u32_e64 s4, s30, v15
	s_and_b32 s4, s2, s4
	s_delay_alu instid0(SALU_CYCLE_1) | instskip(SKIP_2) | instid1(VALU_DEP_1)
	s_and_b32 s33, s1, s4
	s_wait_dscnt 0x0
	v_pk_mul_f32 v[12:13], v[8:9], v[10:11] op_sel:[1,1] op_sel_hi:[1,0]
	v_pk_fma_f32 v[6:7], v[8:9], v[10:11], v[12:13] op_sel_hi:[0,1,1] neg_lo:[0,0,1] neg_hi:[0,0,1]
	v_pk_fma_f32 v[8:9], v[8:9], v[10:11], v[12:13] op_sel_hi:[0,1,1]
	s_and_saveexec_b32 s4, s33
	s_cbranch_execz .LBB2_31
; %bb.30:                               ;   in Loop: Header=BB2_9 Depth=1
	v_mad_u32 v8, s30, s9, v15
	s_delay_alu instid0(VALU_DEP_2)
	v_mov_b32_e32 v7, v9
	flat_store_b64 v8, v[6:7], s[18:19] scale_offset
.LBB2_31:                               ;   in Loop: Header=BB2_9 Depth=1
	s_wait_xcnt 0x0
	s_or_b32 exec_lo, exec_lo, s4
	v_mov_b32_e32 v7, v9
.LBB2_32:                               ;   in Loop: Header=BB2_9 Depth=1
	s_or_b32 exec_lo, exec_lo, s5
	v_add_nc_u32_e32 v25, s31, v20
	s_and_saveexec_b32 s5, s27
	s_cbranch_execz .LBB2_35
; %bb.33:                               ;   in Loop: Header=BB2_9 Depth=1
	flat_load_b64 v[8:9], v25, s[18:19] scale_offset
	v_cmp_eq_u32_e64 s4, s30, v15
	s_wait_loadcnt_dscnt 0x0
	ds_store_b64 v22, v[8:9]
	s_wait_xcnt 0x0
	s_and_b32 exec_lo, exec_lo, s4
; %bb.34:                               ;   in Loop: Header=BB2_9 Depth=1
	ds_store_b64 v1, v[6:7]
.LBB2_35:                               ;   in Loop: Header=BB2_9 Depth=1
	s_or_b32 exec_lo, exec_lo, s5
	s_cmp_lg_u32 s31, s30
	s_wait_storecnt_dscnt 0x0
	s_cselect_b32 s4, -1, 0
	s_barrier_signal -1
	s_and_b32 s4, s27, s4
	s_barrier_wait -1
	s_and_saveexec_b32 s33, s4
	s_cbranch_execz .LBB2_43
; %bb.36:                               ;   in Loop: Header=BB2_9 Depth=1
	v_dual_add_nc_u32 v8, s30, v20 :: v_dual_mov_b32 v12, 0
	s_mov_b64 s[4:5], src_shared_base
	v_cmp_ne_u32_e64 s4, s30, v15
	s_mov_b32 s34, exec_lo
	v_dual_ashrrev_i32 v9, 31, v8 :: v_dual_mov_b32 v13, v12
	s_delay_alu instid0(VALU_DEP_1) | instskip(NEXT) | instid1(VALU_DEP_1)
	v_lshl_add_u64 v[8:9], v[8:9], 3, s[18:19]
	v_cndmask_b32_e64 v11, s5, v9, s4
	s_delay_alu instid0(VALU_DEP_2)
	v_cndmask_b32_e64 v10, 0, v8, s4
	flat_load_b64 v[10:11], v[10:11]
	s_wait_xcnt 0x0
	v_cmpx_lt_u32_e64 s30, v15
	s_cbranch_execz .LBB2_38
; %bb.37:                               ;   in Loop: Header=BB2_9 Depth=1
	ds_load_b64 v[12:13], v1
	ds_load_b64 v[26:27], v22
	s_wait_dscnt 0x0
	v_pk_mul_f32 v[28:29], v[26:27], v[12:13] op_sel:[1,1] op_sel_hi:[0,1]
	v_pk_mul_f32 v[30:31], v[26:27], v[12:13] op_sel_hi:[1,0]
	s_delay_alu instid0(VALU_DEP_2) | instskip(NEXT) | instid1(VALU_DEP_2)
	v_pk_fma_f32 v[12:13], v[26:27], v[12:13], v[28:29] op_sel_hi:[1,0,1]
	v_sub_f32_e32 v12, v30, v28
.LBB2_38:                               ;   in Loop: Header=BB2_9 Depth=1
	s_or_b32 exec_lo, exec_lo, s34
	s_wait_loadcnt_dscnt 0x0
	s_delay_alu instid0(VALU_DEP_1)
	v_pk_add_f32 v[10:11], v[10:11], v[12:13] neg_lo:[0,1] neg_hi:[0,1]
	s_add_co_i32 s5, s30, 1
	s_mov_b32 s34, exec_lo
	flat_store_b64 v25, v[10:11], s[18:19] scale_offset
	ds_load_b64 v[12:13], v22
	s_wait_dscnt 0x0
	flat_store_b64 v[8:9], v[12:13]
	s_wait_xcnt 0x0
	v_cmpx_eq_u32_e64 s5, v15
	s_cbranch_execz .LBB2_40
; %bb.39:                               ;   in Loop: Header=BB2_9 Depth=1
	v_cmp_gt_f32_e64 s5, 0, v10
	s_lshl_b32 s35, s31, 3
	v_cndmask_b32_e64 v8, v10, -v10, s5
	v_cmp_gt_f32_e64 s5, 0, v11
	s_delay_alu instid0(VALU_DEP_1) | instskip(SKIP_4) | instid1(SALU_CYCLE_1)
	v_cndmask_b32_e64 v9, v11, -v11, s5
	s_add_co_i32 s5, s35, 8
	s_lshl_b32 s35, s31, 2
	v_mov_b32_e32 v12, s5
	s_add_co_i32 s5, s22, s35
	v_dual_add_f32 v16, v9, v8 :: v_dual_mov_b32 v8, s5
	ds_store_b64 v12, v[10:11]
	ds_store_b32 v8, v16
.LBB2_40:                               ;   in Loop: Header=BB2_9 Depth=1
	s_or_b32 exec_lo, exec_lo, s34
	s_nor_b32 s5, s20, s4
	s_delay_alu instid0(SALU_CYCLE_1)
	s_and_saveexec_b32 s4, s5
	s_cbranch_execz .LBB2_42
; %bb.41:                               ;   in Loop: Header=BB2_9 Depth=1
	v_mov_b32_e32 v8, s31
	s_clause 0x1
	global_load_b32 v9, v8, s[14:15] scale_offset
	global_load_b32 v10, v[2:3], off
	s_wait_loadcnt 0x1
	global_store_b32 v[2:3], v9, off
	s_wait_loadcnt 0x0
	global_store_b32 v8, v10, s[14:15] scale_offset
.LBB2_42:                               ;   in Loop: Header=BB2_9 Depth=1
	s_wait_xcnt 0x0
	s_or_b32 exec_lo, exec_lo, s4
.LBB2_43:                               ;   in Loop: Header=BB2_9 Depth=1
	s_delay_alu instid0(SALU_CYCLE_1) | instskip(SKIP_2) | instid1(SALU_CYCLE_1)
	s_or_b32 exec_lo, exec_lo, s33
	v_cmp_ge_u32_e64 s4, s30, v15
	s_or_b32 s5, s3, s4
	s_nor_b32 s31, s5, vcc_lo
	s_delay_alu instid0(SALU_CYCLE_1)
	s_and_saveexec_b32 s5, s31
	s_cbranch_execnz .LBB2_46
; %bb.44:                               ;   in Loop: Header=BB2_9 Depth=1
	s_or_b32 exec_lo, exec_lo, s5
	s_and_b32 s5, s2, s4
	s_delay_alu instid0(SALU_CYCLE_1)
	s_and_saveexec_b32 s4, s5
	s_cbranch_execnz .LBB2_52
.LBB2_45:                               ;   in Loop: Header=BB2_9 Depth=1
	s_or_b32 exec_lo, exec_lo, s4
	s_and_saveexec_b32 s4, s2
	s_cbranch_execz .LBB2_8
	s_branch .LBB2_53
.LBB2_46:                               ;   in Loop: Header=BB2_9 Depth=1
	v_add_nc_u32_e32 v12, s30, v21
	s_mov_b32 s31, exec_lo
	s_delay_alu instid0(VALU_DEP_1)
	v_cmpx_gt_i32_e64 s17, v12
	s_cbranch_execz .LBB2_49
; %bb.47:                               ;   in Loop: Header=BB2_9 Depth=1
	v_dual_mov_b32 v8, v7 :: v_dual_mov_b32 v9, v7
	v_dual_mov_b32 v10, v6 :: v_dual_mov_b32 v11, v6
	;; [unrolled: 1-line block ×3, first 2 shown]
	s_mov_b32 s33, 0
.LBB2_48:                               ;   Parent Loop BB2_9 Depth=1
                                        ; =>  This Inner Loop Header: Depth=2
	flat_load_b64 v[26:27], v25, s[18:19] scale_offset
	ds_load_b64 v[28:29], v13
	v_dual_add_nc_u32 v13, s29, v13 :: v_dual_add_nc_u32 v12, s13, v12
	s_delay_alu instid0(VALU_DEP_1) | instskip(SKIP_3) | instid1(VALU_DEP_1)
	v_cmp_le_i32_e32 vcc_lo, s17, v12
	s_or_b32 s33, vcc_lo, s33
	s_wait_dscnt 0x0
	v_pk_mul_f32 v[30:31], v[8:9], v[28:29] op_sel:[0,1] op_sel_hi:[1,0]
	v_pk_fma_f32 v[32:33], v[10:11], v[28:29], v[30:31]
	v_pk_fma_f32 v[28:29], v[10:11], v[28:29], v[30:31] neg_lo:[0,0,1] neg_hi:[0,0,1]
	s_delay_alu instid0(VALU_DEP_2) | instskip(SKIP_1) | instid1(VALU_DEP_1)
	v_mov_b32_e32 v29, v33
	s_wait_loadcnt 0x0
	v_pk_add_f32 v[26:27], v[26:27], v[28:29] neg_lo:[0,1] neg_hi:[0,1]
	flat_store_b64 v25, v[26:27], s[18:19] scale_offset
	s_wait_xcnt 0x0
	v_add_nc_u32_e32 v25, s28, v25
	s_and_not1_b32 exec_lo, exec_lo, s33
	s_cbranch_execnz .LBB2_48
.LBB2_49:                               ;   in Loop: Header=BB2_9 Depth=1
	s_or_b32 exec_lo, exec_lo, s31
	s_cmp_lt_i32 s30, s16
	s_cselect_b32 s31, -1, 0
	s_delay_alu instid0(SALU_CYCLE_1) | instskip(NEXT) | instid1(SALU_CYCLE_1)
	s_and_b32 s33, s2, s31
	s_and_saveexec_b32 s31, s33
	s_cbranch_execz .LBB2_51
; %bb.50:                               ;   in Loop: Header=BB2_9 Depth=1
	s_add_co_i32 s33, s30, 1
	s_delay_alu instid0(SALU_CYCLE_1) | instskip(SKIP_1) | instid1(SALU_CYCLE_1)
	v_mad_u32 v25, s33, s9, v15
	s_lshl_b32 s33, s30, 3
	s_add_co_i32 s33, s21, s33
	s_delay_alu instid0(SALU_CYCLE_1) | instskip(SKIP_4) | instid1(VALU_DEP_1)
	v_mov_b32_e32 v10, s33
	ds_load_b64 v[10:11], v10 offset:8
	flat_load_b64 v[8:9], v25, s[18:19] scale_offset
	s_wait_dscnt 0x1
	v_pk_mul_f32 v[12:13], v[6:7], v[10:11] op_sel:[1,1] op_sel_hi:[1,0]
	v_pk_fma_f32 v[26:27], v[6:7], v[10:11], v[12:13] op_sel_hi:[0,1,1]
	v_pk_fma_f32 v[6:7], v[6:7], v[10:11], v[12:13] neg_lo:[0,0,1] neg_hi:[0,0,1]
	s_delay_alu instid0(VALU_DEP_2) | instskip(SKIP_1) | instid1(VALU_DEP_1)
	v_mov_b32_e32 v7, v27
	s_wait_loadcnt_dscnt 0x0
	v_pk_add_f32 v[6:7], v[8:9], v[6:7] neg_lo:[0,1] neg_hi:[0,1]
	s_delay_alu instid0(VALU_DEP_1) | instskip(SKIP_4) | instid1(VALU_DEP_1)
	v_cmp_gt_f32_e32 vcc_lo, 0, v7
	flat_store_b64 v25, v[6:7], s[18:19] scale_offset
	v_cndmask_b32_e64 v8, v7, -v7, vcc_lo
	v_cmp_gt_f32_e32 vcc_lo, 0, v6
	v_cndmask_b32_e64 v9, v6, -v6, vcc_lo
	v_add_f32_e32 v16, v9, v8
	ds_store_b64 v19, v[6:7]
	ds_store_b32 v17, v16
.LBB2_51:                               ;   in Loop: Header=BB2_9 Depth=1
	s_wait_xcnt 0x0
	s_or_b32 exec_lo, exec_lo, s31
	s_delay_alu instid0(SALU_CYCLE_1) | instskip(SKIP_1) | instid1(SALU_CYCLE_1)
	s_or_b32 exec_lo, exec_lo, s5
	s_and_b32 s5, s2, s4
	s_and_saveexec_b32 s4, s5
	s_cbranch_execz .LBB2_45
.LBB2_52:                               ;   in Loop: Header=BB2_9 Depth=1
	v_mov_b32_e32 v16, 0
	ds_store_b64 v19, v[4:5]
	ds_store_b32 v17, v1
	s_or_b32 exec_lo, exec_lo, s4
	s_and_saveexec_b32 s4, s2
	s_cbranch_execz .LBB2_8
.LBB2_53:                               ;   in Loop: Header=BB2_9 Depth=1
	ds_store_b32 v18, v15
	s_branch .LBB2_8
.LBB2_54:
	s_wait_kmcnt 0x0
	s_mov_b32 s8, 0
.LBB2_55:
	s_mov_b32 s1, 0
	s_mov_b32 s0, exec_lo
	v_cmpx_eq_u32_e32 0, v15
	s_cbranch_execz .LBB2_58
; %bb.56:
	v_mov_b32_e32 v0, s12
	s_cmp_gt_i32 s8, 0
	s_cselect_b32 s0, -1, 0
	global_load_b32 v0, v0, s[10:11] scale_offset
	s_wait_loadcnt 0x0
	v_or_b32_e32 v0, v0, v14
	s_delay_alu instid0(VALU_DEP_1) | instskip(SKIP_1) | instid1(SALU_CYCLE_1)
	v_cmp_eq_u32_e32 vcc_lo, 0, v0
	s_and_b32 s0, vcc_lo, s0
	s_and_b32 exec_lo, exec_lo, s0
	s_cbranch_execz .LBB2_58
; %bb.57:
	s_add_co_i32 s0, s8, s23
	s_delay_alu instid0(SALU_CYCLE_1) | instskip(SKIP_1) | instid1(SALU_CYCLE_1)
	v_dual_mov_b32 v0, 0 :: v_dual_mov_b32 v1, s0
	s_lshl_b32 s0, s12, 2
	s_add_nc_u64 s[0:1], s[10:11], s[0:1]
	global_store_b32 v0, v1, s[0:1]
.LBB2_58:
	s_endpgm
	.section	.rodata,"a",@progbits
	.p2align	6, 0x0
	.amdhsa_kernel _ZN9rocsolver6v33100L18getf2_panel_kernelI19rocblas_complex_numIfEiiPKPS3_EEvT0_S7_T2_lS7_lPS7_llPT1_S7_S7_S9_l
		.amdhsa_group_segment_fixed_size 8
		.amdhsa_private_segment_fixed_size 0
		.amdhsa_kernarg_size 352
		.amdhsa_user_sgpr_count 2
		.amdhsa_user_sgpr_dispatch_ptr 0
		.amdhsa_user_sgpr_queue_ptr 0
		.amdhsa_user_sgpr_kernarg_segment_ptr 1
		.amdhsa_user_sgpr_dispatch_id 0
		.amdhsa_user_sgpr_kernarg_preload_length 0
		.amdhsa_user_sgpr_kernarg_preload_offset 0
		.amdhsa_user_sgpr_private_segment_size 0
		.amdhsa_wavefront_size32 1
		.amdhsa_uses_dynamic_stack 0
		.amdhsa_enable_private_segment 0
		.amdhsa_system_sgpr_workgroup_id_x 1
		.amdhsa_system_sgpr_workgroup_id_y 0
		.amdhsa_system_sgpr_workgroup_id_z 1
		.amdhsa_system_sgpr_workgroup_info 0
		.amdhsa_system_vgpr_workitem_id 1
		.amdhsa_next_free_vgpr 34
		.amdhsa_next_free_sgpr 36
		.amdhsa_named_barrier_count 0
		.amdhsa_reserve_vcc 1
		.amdhsa_float_round_mode_32 0
		.amdhsa_float_round_mode_16_64 0
		.amdhsa_float_denorm_mode_32 3
		.amdhsa_float_denorm_mode_16_64 3
		.amdhsa_fp16_overflow 0
		.amdhsa_memory_ordered 1
		.amdhsa_forward_progress 1
		.amdhsa_inst_pref_size 22
		.amdhsa_round_robin_scheduling 0
		.amdhsa_exception_fp_ieee_invalid_op 0
		.amdhsa_exception_fp_denorm_src 0
		.amdhsa_exception_fp_ieee_div_zero 0
		.amdhsa_exception_fp_ieee_overflow 0
		.amdhsa_exception_fp_ieee_underflow 0
		.amdhsa_exception_fp_ieee_inexact 0
		.amdhsa_exception_int_div_zero 0
	.end_amdhsa_kernel
	.section	.text._ZN9rocsolver6v33100L18getf2_panel_kernelI19rocblas_complex_numIfEiiPKPS3_EEvT0_S7_T2_lS7_lPS7_llPT1_S7_S7_S9_l,"axG",@progbits,_ZN9rocsolver6v33100L18getf2_panel_kernelI19rocblas_complex_numIfEiiPKPS3_EEvT0_S7_T2_lS7_lPS7_llPT1_S7_S7_S9_l,comdat
.Lfunc_end2:
	.size	_ZN9rocsolver6v33100L18getf2_panel_kernelI19rocblas_complex_numIfEiiPKPS3_EEvT0_S7_T2_lS7_lPS7_llPT1_S7_S7_S9_l, .Lfunc_end2-_ZN9rocsolver6v33100L18getf2_panel_kernelI19rocblas_complex_numIfEiiPKPS3_EEvT0_S7_T2_lS7_lPS7_llPT1_S7_S7_S9_l
                                        ; -- End function
	.set _ZN9rocsolver6v33100L18getf2_panel_kernelI19rocblas_complex_numIfEiiPKPS3_EEvT0_S7_T2_lS7_lPS7_llPT1_S7_S7_S9_l.num_vgpr, 34
	.set _ZN9rocsolver6v33100L18getf2_panel_kernelI19rocblas_complex_numIfEiiPKPS3_EEvT0_S7_T2_lS7_lPS7_llPT1_S7_S7_S9_l.num_agpr, 0
	.set _ZN9rocsolver6v33100L18getf2_panel_kernelI19rocblas_complex_numIfEiiPKPS3_EEvT0_S7_T2_lS7_lPS7_llPT1_S7_S7_S9_l.numbered_sgpr, 36
	.set _ZN9rocsolver6v33100L18getf2_panel_kernelI19rocblas_complex_numIfEiiPKPS3_EEvT0_S7_T2_lS7_lPS7_llPT1_S7_S7_S9_l.num_named_barrier, 0
	.set _ZN9rocsolver6v33100L18getf2_panel_kernelI19rocblas_complex_numIfEiiPKPS3_EEvT0_S7_T2_lS7_lPS7_llPT1_S7_S7_S9_l.private_seg_size, 0
	.set _ZN9rocsolver6v33100L18getf2_panel_kernelI19rocblas_complex_numIfEiiPKPS3_EEvT0_S7_T2_lS7_lPS7_llPT1_S7_S7_S9_l.uses_vcc, 1
	.set _ZN9rocsolver6v33100L18getf2_panel_kernelI19rocblas_complex_numIfEiiPKPS3_EEvT0_S7_T2_lS7_lPS7_llPT1_S7_S7_S9_l.uses_flat_scratch, 0
	.set _ZN9rocsolver6v33100L18getf2_panel_kernelI19rocblas_complex_numIfEiiPKPS3_EEvT0_S7_T2_lS7_lPS7_llPT1_S7_S7_S9_l.has_dyn_sized_stack, 0
	.set _ZN9rocsolver6v33100L18getf2_panel_kernelI19rocblas_complex_numIfEiiPKPS3_EEvT0_S7_T2_lS7_lPS7_llPT1_S7_S7_S9_l.has_recursion, 0
	.set _ZN9rocsolver6v33100L18getf2_panel_kernelI19rocblas_complex_numIfEiiPKPS3_EEvT0_S7_T2_lS7_lPS7_llPT1_S7_S7_S9_l.has_indirect_call, 0
	.section	.AMDGPU.csdata,"",@progbits
; Kernel info:
; codeLenInByte = 2804
; TotalNumSgprs: 38
; NumVgprs: 34
; ScratchSize: 0
; MemoryBound: 0
; FloatMode: 240
; IeeeMode: 1
; LDSByteSize: 8 bytes/workgroup (compile time only)
; SGPRBlocks: 0
; VGPRBlocks: 2
; NumSGPRsForWavesPerEU: 38
; NumVGPRsForWavesPerEU: 34
; NamedBarCnt: 0
; Occupancy: 16
; WaveLimiterHint : 1
; COMPUTE_PGM_RSRC2:SCRATCH_EN: 0
; COMPUTE_PGM_RSRC2:USER_SGPR: 2
; COMPUTE_PGM_RSRC2:TRAP_HANDLER: 0
; COMPUTE_PGM_RSRC2:TGID_X_EN: 1
; COMPUTE_PGM_RSRC2:TGID_Y_EN: 0
; COMPUTE_PGM_RSRC2:TGID_Z_EN: 1
; COMPUTE_PGM_RSRC2:TIDIG_COMP_CNT: 1
	.section	.text._ZN9rocsolver6v33100L23getf2_npvt_panel_kernelI19rocblas_complex_numIfEiiPKPS3_EEvT0_S7_T2_lS7_lPT1_S7_S7_,"axG",@progbits,_ZN9rocsolver6v33100L23getf2_npvt_panel_kernelI19rocblas_complex_numIfEiiPKPS3_EEvT0_S7_T2_lS7_lPT1_S7_S7_,comdat
	.globl	_ZN9rocsolver6v33100L23getf2_npvt_panel_kernelI19rocblas_complex_numIfEiiPKPS3_EEvT0_S7_T2_lS7_lPT1_S7_S7_ ; -- Begin function _ZN9rocsolver6v33100L23getf2_npvt_panel_kernelI19rocblas_complex_numIfEiiPKPS3_EEvT0_S7_T2_lS7_lPT1_S7_S7_
	.p2align	8
	.type	_ZN9rocsolver6v33100L23getf2_npvt_panel_kernelI19rocblas_complex_numIfEiiPKPS3_EEvT0_S7_T2_lS7_lPT1_S7_S7_,@function
_ZN9rocsolver6v33100L23getf2_npvt_panel_kernelI19rocblas_complex_numIfEiiPKPS3_EEvT0_S7_T2_lS7_lPT1_S7_S7_: ; @_ZN9rocsolver6v33100L23getf2_npvt_panel_kernelI19rocblas_complex_numIfEiiPKPS3_EEvT0_S7_T2_lS7_lPT1_S7_S7_
; %bb.0:
	s_load_b128 s[12:15], s[0:1], 0x8
	s_bfe_u32 s2, ttmp6, 0x40014
	s_lshr_b32 s3, ttmp7, 16
	s_add_co_i32 s2, s2, 1
	s_bfe_u32 s4, ttmp6, 0x40008
	s_mul_i32 s2, s3, s2
	s_getreg_b32 s5, hwreg(HW_REG_IB_STS2, 6, 4)
	s_add_co_i32 s4, s4, s2
	s_cmp_eq_u32 s5, 0
	v_bfe_u32 v8, v0, 10, 10
	s_cselect_b32 s10, s3, s4
	v_and_b32_e32 v9, 0x3ff, v0
	s_wait_kmcnt 0x0
	s_load_b64 s[6:7], s[12:13], s10 offset:0x0 scale_offset
	s_clause 0x1
	s_load_b64 s[4:5], s[0:1], 0x0
	s_load_b32 s3, s[0:1], 0x44
	v_cmp_eq_u32_e64 s2, 0, v8
	s_lshl_b64 s[8:9], s[14:15], 3
	s_wait_kmcnt 0x0
	s_add_nc_u64 s[6:7], s[6:7], s[8:9]
	s_and_saveexec_b32 s8, s2
	s_cbranch_execz .LBB3_4
; %bb.1:
	v_dual_mov_b32 v0, 0 :: v_dual_mov_b32 v1, 0
	s_mov_b32 s9, exec_lo
	v_cmpx_gt_i32_e64 s4, v9
	s_cbranch_execz .LBB3_3
; %bb.2:
	flat_load_b64 v[0:1], v9, s[6:7] scale_offset
.LBB3_3:
	s_wait_xcnt 0x0
	s_or_b32 exec_lo, exec_lo, s9
	v_lshl_add_u32 v2, v9, 3, 0
	s_wait_loadcnt_dscnt 0x0
	ds_store_b64 v2, v[0:1]
.LBB3_4:
	s_or_b32 exec_lo, exec_lo, s8
	s_cmp_lt_i32 s5, 1
	s_cbranch_scc1 .LBB3_29
; %bb.5:
	s_load_b32 s12, s[0:1], 0x18
	v_dual_lshlrev_b32 v0, 3, v9 :: v_dual_add_nc_u32 v10, 2, v8
	s_and_b32 s8, s3, 0xffff
	s_lshr_b32 s13, s3, 16
	v_cmp_gt_i32_e64 s3, s4, v9
	s_lshl_b32 s4, s8, 3
	v_lshlrev_b32_e32 v2, 3, v8
	s_add_co_i32 s4, s4, 0
	v_cmp_gt_u32_e32 vcc_lo, s5, v9
	v_dual_add_nc_u32 v11, 0, v0 :: v_dual_add_nc_u32 v14, s4, v0
	v_mov_b64_e32 v[0:1], 0
	v_add3_u32 v15, s4, v2, 16
	s_mov_b32 s11, 0
	s_and_b32 s14, s2, vcc_lo
	s_add_co_i32 s15, s5, -1
	s_lshl_b32 s17, s13, 3
	s_mov_b32 s18, 0
	s_wait_kmcnt 0x0
	v_mul_lo_u32 v12, s12, v9
	v_mad_u32 v13, s12, v10, v9
	s_mul_i32 s16, s12, s13
	s_branch .LBB3_7
.LBB3_6:                                ;   in Loop: Header=BB3_7 Depth=1
	s_or_b32 exec_lo, exec_lo, s8
	v_dual_add_nc_u32 v13, s12, v13 :: v_dual_add_nc_u32 v15, 8, v15
	s_add_co_i32 s18, s18, 1
	s_delay_alu instid0(SALU_CYCLE_1)
	s_cmp_eq_u32 s18, s5
	s_cbranch_scc1 .LBB3_30
.LBB3_7:                                ; =>This Loop Header: Depth=1
                                        ;     Child Loop BB3_21 Depth 2
	s_lshl_b32 s19, s18, 3
	s_wait_dscnt 0x0
	s_add_co_i32 s8, s19, 0
	s_barrier_signal -1
	v_mov_b32_e32 v2, s8
	s_barrier_wait -1
	ds_load_b64 v[2:3], v2
	s_wait_dscnt 0x0
	v_readfirstlane_b32 s8, v2
	v_readfirstlane_b32 s9, v3
	s_cmp_eq_f32 s8, 0
	s_cselect_b32 s20, -1, 0
	s_cmp_eq_f32 s9, 0
	s_cselect_b32 s21, -1, 0
	s_delay_alu instid0(SALU_CYCLE_1) | instskip(SKIP_2) | instid1(SALU_CYCLE_1)
	s_and_b32 s20, s20, s21
	s_cmp_eq_u32 s11, 0
	s_cselect_b32 s21, -1, 0
	s_and_b32 s20, s20, s21
	s_delay_alu instid0(SALU_CYCLE_1)
	s_and_not1_b32 vcc_lo, exec_lo, s20
	s_cbranch_vccz .LBB3_10
; %bb.8:                                ;   in Loop: Header=BB3_7 Depth=1
	s_and_b32 s20, s8, 0x7fffffff
	s_and_b32 s21, s9, 0x7fffffff
	s_delay_alu instid0(SALU_CYCLE_1)
	s_cmp_ngt_f32 s20, s21
	s_cbranch_scc0 .LBB3_11
; %bb.9:                                ;   in Loop: Header=BB3_7 Depth=1
	v_div_scale_f32 v2, null, s9, s9, s8
	v_div_scale_f32 v5, vcc_lo, s8, s9, s8
	s_delay_alu instid0(VALU_DEP_2)
	v_rcp_f32_e32 v3, v2
	v_nop
	v_xor_b32_e32 v2, 0x80000000, v2
	s_delay_alu instid0(TRANS32_DEP_1) | instid1(VALU_DEP_1)
	v_fma_f32 v4, v2, v3, 1.0
	s_delay_alu instid0(VALU_DEP_1) | instskip(NEXT) | instid1(VALU_DEP_1)
	v_fmac_f32_e32 v3, v4, v3
	v_mul_f32_e32 v4, v5, v3
	s_delay_alu instid0(VALU_DEP_1) | instskip(NEXT) | instid1(VALU_DEP_1)
	v_fma_f32 v6, v2, v4, v5
	v_fmac_f32_e32 v4, v6, v3
	s_delay_alu instid0(VALU_DEP_1) | instskip(NEXT) | instid1(VALU_DEP_1)
	v_fmac_f32_e32 v5, v2, v4
	v_div_fmas_f32 v2, v5, v3, v4
	s_delay_alu instid0(VALU_DEP_1) | instskip(NEXT) | instid1(VALU_DEP_1)
	v_div_fixup_f32 v2, v2, s9, s8
	v_fma_f32 v3, s8, v2, s9
	s_delay_alu instid0(VALU_DEP_1) | instskip(SKIP_1) | instid1(VALU_DEP_2)
	v_div_scale_f32 v4, null, v3, v3, 1.0
	v_div_scale_f32 v7, vcc_lo, 1.0, v3, 1.0
	v_rcp_f32_e32 v5, v4
	v_nop
	v_xor_b32_e32 v4, 0x80000000, v4
	s_delay_alu instid0(TRANS32_DEP_1) | instid1(VALU_DEP_1)
	v_fma_f32 v6, v4, v5, 1.0
	s_delay_alu instid0(VALU_DEP_1) | instskip(NEXT) | instid1(VALU_DEP_1)
	v_fmac_f32_e32 v5, v6, v5
	v_mul_f32_e32 v6, v7, v5
	s_delay_alu instid0(VALU_DEP_1) | instskip(NEXT) | instid1(VALU_DEP_1)
	v_fma_f32 v16, v4, v6, v7
	v_fmac_f32_e32 v6, v16, v5
	s_delay_alu instid0(VALU_DEP_1) | instskip(NEXT) | instid1(VALU_DEP_1)
	v_fmac_f32_e32 v7, v4, v6
	v_div_fmas_f32 v4, v7, v5, v6
	s_delay_alu instid0(VALU_DEP_1) | instskip(NEXT) | instid1(VALU_DEP_1)
	v_div_fixup_f32 v3, v4, v3, 1.0
	v_mul_f32_e32 v4, v2, v3
	v_xor_b32_e32 v5, 0x80000000, v3
	s_delay_alu instid0(VALU_DEP_2) | instskip(NEXT) | instid1(VALU_DEP_2)
	v_mov_b32_e32 v2, v4
	v_mov_b64_e32 v[6:7], v[4:5]
	s_cbranch_execz .LBB3_12
	s_branch .LBB3_13
.LBB3_10:                               ;   in Loop: Header=BB3_7 Depth=1
                                        ; implicit-def: $vgpr5
                                        ; implicit-def: $vgpr2
                                        ; implicit-def: $vgpr6_vgpr7
	s_branch .LBB3_14
.LBB3_11:                               ;   in Loop: Header=BB3_7 Depth=1
                                        ; implicit-def: $vgpr5
                                        ; implicit-def: $vgpr2
                                        ; implicit-def: $vgpr6_vgpr7
.LBB3_12:                               ;   in Loop: Header=BB3_7 Depth=1
	v_div_scale_f32 v2, null, s8, s8, s9
	v_div_scale_f32 v5, vcc_lo, s9, s8, s9
	s_delay_alu instid0(VALU_DEP_2)
	v_rcp_f32_e32 v3, v2
	v_nop
	v_xor_b32_e32 v2, 0x80000000, v2
	s_delay_alu instid0(TRANS32_DEP_1) | instid1(VALU_DEP_1)
	v_fma_f32 v4, v2, v3, 1.0
	s_delay_alu instid0(VALU_DEP_1) | instskip(NEXT) | instid1(VALU_DEP_1)
	v_fmac_f32_e32 v3, v4, v3
	v_mul_f32_e32 v4, v5, v3
	s_delay_alu instid0(VALU_DEP_1) | instskip(NEXT) | instid1(VALU_DEP_1)
	v_fma_f32 v6, v2, v4, v5
	v_fmac_f32_e32 v4, v6, v3
	s_delay_alu instid0(VALU_DEP_1) | instskip(NEXT) | instid1(VALU_DEP_1)
	v_fmac_f32_e32 v5, v2, v4
	v_div_fmas_f32 v2, v5, v3, v4
	s_delay_alu instid0(VALU_DEP_1) | instskip(NEXT) | instid1(VALU_DEP_1)
	v_div_fixup_f32 v2, v2, s8, s9
	v_fma_f32 v3, s9, v2, s8
	s_delay_alu instid0(VALU_DEP_1) | instskip(NEXT) | instid1(VALU_DEP_1)
	v_div_scale_f32 v4, null, v3, v3, 1.0
	v_rcp_f32_e32 v5, v4
	v_nop
	v_xor_b32_e32 v4, 0x80000000, v4
	s_delay_alu instid0(TRANS32_DEP_1) | instid1(VALU_DEP_1)
	v_fma_f32 v6, v4, v5, 1.0
	s_delay_alu instid0(VALU_DEP_1) | instskip(SKIP_1) | instid1(VALU_DEP_1)
	v_fmac_f32_e32 v5, v6, v5
	v_div_scale_f32 v6, vcc_lo, 1.0, v3, 1.0
	v_mul_f32_e32 v7, v6, v5
	s_delay_alu instid0(VALU_DEP_1) | instskip(NEXT) | instid1(VALU_DEP_1)
	v_fma_f32 v16, v4, v7, v6
	v_fmac_f32_e32 v7, v16, v5
	s_delay_alu instid0(VALU_DEP_1) | instskip(NEXT) | instid1(VALU_DEP_1)
	v_fmac_f32_e32 v6, v4, v7
	v_div_fmas_f32 v4, v6, v5, v7
	s_delay_alu instid0(VALU_DEP_1) | instskip(NEXT) | instid1(VALU_DEP_1)
	v_div_fixup_f32 v4, v4, v3, 1.0
	v_xor_b32_e32 v3, 0x80000000, v4
	s_delay_alu instid0(VALU_DEP_1) | instskip(NEXT) | instid1(VALU_DEP_1)
	v_dual_mul_f32 v5, v2, v3 :: v_dual_mov_b32 v2, v4
	v_mov_b64_e32 v[6:7], v[4:5]
.LBB3_13:                               ;   in Loop: Header=BB3_7 Depth=1
	s_cbranch_execnz .LBB3_15
.LBB3_14:                               ;   in Loop: Header=BB3_7 Depth=1
	v_mov_b64_e32 v[6:7], s[8:9]
	v_dual_mov_b32 v2, s8 :: v_dual_mov_b32 v5, s9
	s_add_co_i32 s11, s18, 1
.LBB3_15:                               ;   in Loop: Header=BB3_7 Depth=1
	s_mov_b32 s8, exec_lo
	v_cmpx_ne_u32_e64 s18, v9
	s_cbranch_execnz .LBB3_26
; %bb.16:                               ;   in Loop: Header=BB3_7 Depth=1
	s_or_b32 exec_lo, exec_lo, s8
	s_and_saveexec_b32 s8, s14
	s_cbranch_execz .LBB3_18
.LBB3_17:                               ;   in Loop: Header=BB3_7 Depth=1
	v_add_nc_u32_e32 v3, s18, v12
	flat_load_b64 v[6:7], v3, s[6:7] scale_offset
	s_wait_loadcnt_dscnt 0x0
	ds_store_b64 v14, v[6:7]
.LBB3_18:                               ;   in Loop: Header=BB3_7 Depth=1
	s_wait_xcnt 0x0
	s_or_b32 exec_lo, exec_lo, s8
	v_cmp_lt_u32_e32 vcc_lo, s18, v9
	s_wait_storecnt_dscnt 0x0
	s_barrier_signal -1
	s_barrier_wait -1
	s_and_b32 s9, s3, vcc_lo
	s_delay_alu instid0(SALU_CYCLE_1)
	s_and_saveexec_b32 s8, s9
	s_cbranch_execz .LBB3_24
; %bb.19:                               ;   in Loop: Header=BB3_7 Depth=1
	v_dual_mov_b32 v3, v5 :: v_dual_add_nc_u32 v16, s18, v10
	s_mov_b32 s9, exec_lo
	s_delay_alu instid0(VALU_DEP_1)
	v_cmpx_gt_i32_e64 s5, v16
	s_cbranch_execz .LBB3_22
; %bb.20:                               ;   in Loop: Header=BB3_7 Depth=1
	s_delay_alu instid0(VALU_DEP_2)
	v_dual_mov_b32 v4, v5 :: v_dual_mov_b32 v5, v3
	v_dual_mov_b32 v6, v2 :: v_dual_mov_b32 v7, v2
	;; [unrolled: 1-line block ×3, first 2 shown]
	s_mov_b32 s20, 0
.LBB3_21:                               ;   Parent Loop BB3_7 Depth=1
                                        ; =>  This Inner Loop Header: Depth=2
	flat_load_b64 v[20:21], v18, s[6:7] scale_offset
	ds_load_b64 v[22:23], v17
	v_dual_add_nc_u32 v16, s13, v16 :: v_dual_add_nc_u32 v17, s17, v17
	s_delay_alu instid0(VALU_DEP_1) | instskip(SKIP_3) | instid1(VALU_DEP_1)
	v_cmp_le_i32_e32 vcc_lo, s5, v16
	s_or_b32 s20, vcc_lo, s20
	s_wait_dscnt 0x0
	v_pk_mul_f32 v[24:25], v[4:5], v[22:23] op_sel:[0,1] op_sel_hi:[1,0]
	v_pk_fma_f32 v[26:27], v[6:7], v[22:23], v[24:25]
	v_pk_fma_f32 v[22:23], v[6:7], v[22:23], v[24:25] neg_lo:[0,0,1] neg_hi:[0,0,1]
	s_delay_alu instid0(VALU_DEP_2) | instskip(SKIP_1) | instid1(VALU_DEP_1)
	v_mov_b32_e32 v23, v27
	s_wait_loadcnt 0x0
	v_pk_add_f32 v[20:21], v[20:21], v[22:23] neg_lo:[0,1] neg_hi:[0,1]
	flat_store_b64 v18, v[20:21], s[6:7] scale_offset
	s_wait_xcnt 0x0
	v_add_nc_u32_e32 v18, s16, v18
	s_and_not1_b32 exec_lo, exec_lo, s20
	s_cbranch_execnz .LBB3_21
.LBB3_22:                               ;   in Loop: Header=BB3_7 Depth=1
	s_or_b32 exec_lo, exec_lo, s9
	s_cmp_lt_i32 s18, s15
	s_cselect_b32 s9, -1, 0
	s_delay_alu instid0(SALU_CYCLE_1) | instskip(NEXT) | instid1(SALU_CYCLE_1)
	s_and_b32 s9, s2, s9
	s_and_b32 exec_lo, exec_lo, s9
	s_cbranch_execz .LBB3_24
; %bb.23:                               ;   in Loop: Header=BB3_7 Depth=1
	s_add_co_i32 s9, s18, 1
	s_delay_alu instid0(SALU_CYCLE_1) | instskip(SKIP_1) | instid1(SALU_CYCLE_1)
	v_mad_u32 v20, s9, s12, v9
	s_add_co_i32 s9, s4, s19
	v_mov_b32_e32 v6, s9
	ds_load_b64 v[6:7], v6 offset:8
	flat_load_b64 v[4:5], v20, s[6:7] scale_offset
	s_wait_dscnt 0x1
	v_pk_mul_f32 v[16:17], v[2:3], v[6:7] op_sel:[1,1] op_sel_hi:[1,0]
	s_delay_alu instid0(VALU_DEP_1) | instskip(SKIP_1) | instid1(VALU_DEP_2)
	v_pk_fma_f32 v[18:19], v[2:3], v[6:7], v[16:17] op_sel_hi:[0,1,1]
	v_pk_fma_f32 v[2:3], v[2:3], v[6:7], v[16:17] neg_lo:[0,0,1] neg_hi:[0,0,1]
	v_mov_b32_e32 v3, v19
	s_wait_loadcnt_dscnt 0x0
	s_delay_alu instid0(VALU_DEP_1)
	v_pk_add_f32 v[2:3], v[4:5], v[2:3] neg_lo:[0,1] neg_hi:[0,1]
	flat_store_b64 v20, v[2:3], s[6:7] scale_offset
	ds_store_b64 v11, v[2:3]
.LBB3_24:                               ;   in Loop: Header=BB3_7 Depth=1
	s_wait_xcnt 0x0
	s_or_b32 exec_lo, exec_lo, s8
	v_cmp_ge_u32_e32 vcc_lo, s18, v9
	s_and_b32 s9, s2, vcc_lo
	s_delay_alu instid0(SALU_CYCLE_1)
	s_and_saveexec_b32 s8, s9
	s_cbranch_execz .LBB3_6
; %bb.25:                               ;   in Loop: Header=BB3_7 Depth=1
	ds_store_b64 v11, v[0:1]
	s_branch .LBB3_6
.LBB3_26:                               ;   in Loop: Header=BB3_7 Depth=1
	ds_load_b64 v[2:3], v11
	v_cmp_le_u32_e32 vcc_lo, s18, v9
	s_and_b32 s9, s2, vcc_lo
	s_delay_alu instid0(SALU_CYCLE_1) | instskip(SKIP_2) | instid1(VALU_DEP_1)
	s_and_b32 s20, s3, s9
	s_wait_dscnt 0x0
	v_pk_mul_f32 v[16:17], v[6:7], v[2:3] op_sel:[1,1] op_sel_hi:[1,0]
	v_pk_fma_f32 v[4:5], v[6:7], v[2:3], v[16:17] op_sel_hi:[0,1,1]
	v_pk_fma_f32 v[2:3], v[6:7], v[2:3], v[16:17] op_sel_hi:[0,1,1] neg_lo:[0,0,1] neg_hi:[0,0,1]
	s_and_saveexec_b32 s9, s20
	s_cbranch_execz .LBB3_28
; %bb.27:                               ;   in Loop: Header=BB3_7 Depth=1
	v_mad_u32 v4, s18, s12, v9
	v_mov_b32_e32 v3, v5
	flat_store_b64 v4, v[2:3], s[6:7] scale_offset
.LBB3_28:                               ;   in Loop: Header=BB3_7 Depth=1
	s_wait_xcnt 0x0
	s_or_b32 exec_lo, exec_lo, s9
	s_delay_alu instid0(SALU_CYCLE_1)
	s_or_b32 exec_lo, exec_lo, s8
	s_and_saveexec_b32 s8, s14
	s_cbranch_execnz .LBB3_17
	s_branch .LBB3_18
.LBB3_29:
	s_mov_b32 s11, 0
.LBB3_30:
	s_mov_b32 s3, 0
	s_mov_b32 s2, exec_lo
	v_cmpx_eq_u32_e32 0, v9
	s_cbranch_execz .LBB3_33
; %bb.31:
	s_load_b64 s[4:5], s[0:1], 0x28
	v_mov_b32_e32 v0, s10
	s_cmp_gt_i32 s11, 0
	s_cselect_b32 s2, -1, 0
	s_wait_kmcnt 0x0
	global_load_b32 v0, v0, s[4:5] scale_offset
	s_wait_loadcnt 0x0
	v_or_b32_e32 v0, v0, v8
	s_delay_alu instid0(VALU_DEP_1) | instskip(SKIP_1) | instid1(SALU_CYCLE_1)
	v_cmp_eq_u32_e32 vcc_lo, 0, v0
	s_and_b32 s2, vcc_lo, s2
	s_and_b32 exec_lo, exec_lo, s2
	s_cbranch_execz .LBB3_33
; %bb.32:
	s_load_b32 s0, s[0:1], 0x34
	s_lshl_b32 s2, s10, 2
	s_wait_kmcnt 0x0
	s_add_co_i32 s0, s11, s0
	s_delay_alu instid0(SALU_CYCLE_1)
	v_dual_mov_b32 v0, 0 :: v_dual_mov_b32 v1, s0
	s_add_nc_u64 s[0:1], s[4:5], s[2:3]
	global_store_b32 v0, v1, s[0:1]
.LBB3_33:
	s_endpgm
	.section	.rodata,"a",@progbits
	.p2align	6, 0x0
	.amdhsa_kernel _ZN9rocsolver6v33100L23getf2_npvt_panel_kernelI19rocblas_complex_numIfEiiPKPS3_EEvT0_S7_T2_lS7_lPT1_S7_S7_
		.amdhsa_group_segment_fixed_size 0
		.amdhsa_private_segment_fixed_size 0
		.amdhsa_kernarg_size 312
		.amdhsa_user_sgpr_count 2
		.amdhsa_user_sgpr_dispatch_ptr 0
		.amdhsa_user_sgpr_queue_ptr 0
		.amdhsa_user_sgpr_kernarg_segment_ptr 1
		.amdhsa_user_sgpr_dispatch_id 0
		.amdhsa_user_sgpr_kernarg_preload_length 0
		.amdhsa_user_sgpr_kernarg_preload_offset 0
		.amdhsa_user_sgpr_private_segment_size 0
		.amdhsa_wavefront_size32 1
		.amdhsa_uses_dynamic_stack 0
		.amdhsa_enable_private_segment 0
		.amdhsa_system_sgpr_workgroup_id_x 1
		.amdhsa_system_sgpr_workgroup_id_y 0
		.amdhsa_system_sgpr_workgroup_id_z 1
		.amdhsa_system_sgpr_workgroup_info 0
		.amdhsa_system_vgpr_workitem_id 1
		.amdhsa_next_free_vgpr 28
		.amdhsa_next_free_sgpr 22
		.amdhsa_named_barrier_count 0
		.amdhsa_reserve_vcc 1
		.amdhsa_float_round_mode_32 0
		.amdhsa_float_round_mode_16_64 0
		.amdhsa_float_denorm_mode_32 3
		.amdhsa_float_denorm_mode_16_64 3
		.amdhsa_fp16_overflow 0
		.amdhsa_memory_ordered 1
		.amdhsa_forward_progress 1
		.amdhsa_inst_pref_size 14
		.amdhsa_round_robin_scheduling 0
		.amdhsa_exception_fp_ieee_invalid_op 0
		.amdhsa_exception_fp_denorm_src 0
		.amdhsa_exception_fp_ieee_div_zero 0
		.amdhsa_exception_fp_ieee_overflow 0
		.amdhsa_exception_fp_ieee_underflow 0
		.amdhsa_exception_fp_ieee_inexact 0
		.amdhsa_exception_int_div_zero 0
	.end_amdhsa_kernel
	.section	.text._ZN9rocsolver6v33100L23getf2_npvt_panel_kernelI19rocblas_complex_numIfEiiPKPS3_EEvT0_S7_T2_lS7_lPT1_S7_S7_,"axG",@progbits,_ZN9rocsolver6v33100L23getf2_npvt_panel_kernelI19rocblas_complex_numIfEiiPKPS3_EEvT0_S7_T2_lS7_lPT1_S7_S7_,comdat
.Lfunc_end3:
	.size	_ZN9rocsolver6v33100L23getf2_npvt_panel_kernelI19rocblas_complex_numIfEiiPKPS3_EEvT0_S7_T2_lS7_lPT1_S7_S7_, .Lfunc_end3-_ZN9rocsolver6v33100L23getf2_npvt_panel_kernelI19rocblas_complex_numIfEiiPKPS3_EEvT0_S7_T2_lS7_lPT1_S7_S7_
                                        ; -- End function
	.set _ZN9rocsolver6v33100L23getf2_npvt_panel_kernelI19rocblas_complex_numIfEiiPKPS3_EEvT0_S7_T2_lS7_lPT1_S7_S7_.num_vgpr, 28
	.set _ZN9rocsolver6v33100L23getf2_npvt_panel_kernelI19rocblas_complex_numIfEiiPKPS3_EEvT0_S7_T2_lS7_lPT1_S7_S7_.num_agpr, 0
	.set _ZN9rocsolver6v33100L23getf2_npvt_panel_kernelI19rocblas_complex_numIfEiiPKPS3_EEvT0_S7_T2_lS7_lPT1_S7_S7_.numbered_sgpr, 22
	.set _ZN9rocsolver6v33100L23getf2_npvt_panel_kernelI19rocblas_complex_numIfEiiPKPS3_EEvT0_S7_T2_lS7_lPT1_S7_S7_.num_named_barrier, 0
	.set _ZN9rocsolver6v33100L23getf2_npvt_panel_kernelI19rocblas_complex_numIfEiiPKPS3_EEvT0_S7_T2_lS7_lPT1_S7_S7_.private_seg_size, 0
	.set _ZN9rocsolver6v33100L23getf2_npvt_panel_kernelI19rocblas_complex_numIfEiiPKPS3_EEvT0_S7_T2_lS7_lPT1_S7_S7_.uses_vcc, 1
	.set _ZN9rocsolver6v33100L23getf2_npvt_panel_kernelI19rocblas_complex_numIfEiiPKPS3_EEvT0_S7_T2_lS7_lPT1_S7_S7_.uses_flat_scratch, 0
	.set _ZN9rocsolver6v33100L23getf2_npvt_panel_kernelI19rocblas_complex_numIfEiiPKPS3_EEvT0_S7_T2_lS7_lPT1_S7_S7_.has_dyn_sized_stack, 0
	.set _ZN9rocsolver6v33100L23getf2_npvt_panel_kernelI19rocblas_complex_numIfEiiPKPS3_EEvT0_S7_T2_lS7_lPT1_S7_S7_.has_recursion, 0
	.set _ZN9rocsolver6v33100L23getf2_npvt_panel_kernelI19rocblas_complex_numIfEiiPKPS3_EEvT0_S7_T2_lS7_lPT1_S7_S7_.has_indirect_call, 0
	.section	.AMDGPU.csdata,"",@progbits
; Kernel info:
; codeLenInByte = 1704
; TotalNumSgprs: 24
; NumVgprs: 28
; ScratchSize: 0
; MemoryBound: 0
; FloatMode: 240
; IeeeMode: 1
; LDSByteSize: 0 bytes/workgroup (compile time only)
; SGPRBlocks: 0
; VGPRBlocks: 1
; NumSGPRsForWavesPerEU: 24
; NumVGPRsForWavesPerEU: 28
; NamedBarCnt: 0
; Occupancy: 16
; WaveLimiterHint : 1
; COMPUTE_PGM_RSRC2:SCRATCH_EN: 0
; COMPUTE_PGM_RSRC2:USER_SGPR: 2
; COMPUTE_PGM_RSRC2:TRAP_HANDLER: 0
; COMPUTE_PGM_RSRC2:TGID_X_EN: 1
; COMPUTE_PGM_RSRC2:TGID_Y_EN: 0
; COMPUTE_PGM_RSRC2:TGID_Z_EN: 1
; COMPUTE_PGM_RSRC2:TIDIG_COMP_CNT: 1
	.section	.text._ZN9rocsolver6v33100L25getf2_scale_update_kernelI19rocblas_complex_numIfEiPS3_EEvT0_S5_PT_T1_lS5_l,"axG",@progbits,_ZN9rocsolver6v33100L25getf2_scale_update_kernelI19rocblas_complex_numIfEiPS3_EEvT0_S5_PT_T1_lS5_l,comdat
	.globl	_ZN9rocsolver6v33100L25getf2_scale_update_kernelI19rocblas_complex_numIfEiPS3_EEvT0_S5_PT_T1_lS5_l ; -- Begin function _ZN9rocsolver6v33100L25getf2_scale_update_kernelI19rocblas_complex_numIfEiPS3_EEvT0_S5_PT_T1_lS5_l
	.p2align	8
	.type	_ZN9rocsolver6v33100L25getf2_scale_update_kernelI19rocblas_complex_numIfEiPS3_EEvT0_S5_PT_T1_lS5_l,@function
_ZN9rocsolver6v33100L25getf2_scale_update_kernelI19rocblas_complex_numIfEiPS3_EEvT0_S5_PT_T1_lS5_l: ; @_ZN9rocsolver6v33100L25getf2_scale_update_kernelI19rocblas_complex_numIfEiPS3_EEvT0_S5_PT_T1_lS5_l
; %bb.0:
	s_clause 0x4
	s_load_b96 s[8:10], s[0:1], 0x18
	s_load_b32 s11, s[0:1], 0x3c
	s_load_b64 s[14:15], s[0:1], 0x28
	s_load_b64 s[2:3], s[0:1], 0x0
	s_load_b128 s[4:7], s[0:1], 0x8
	s_wait_xcnt 0x0
	s_bfe_u32 s0, ttmp6, 0x40014
	s_lshr_b32 s12, ttmp7, 16
	s_add_co_i32 s13, s0, 1
	s_bfe_u32 s1, ttmp6, 0x40008
	s_mul_i32 s13, s12, s13
	s_getreg_b32 s0, hwreg(HW_REG_IB_STS2, 6, 4)
	s_add_co_i32 s16, s1, s13
	s_mov_b32 s13, 0
	v_and_b32_e32 v2, 0x3ff, v0
	v_bfe_u32 v4, v0, 10, 10
	s_wait_kmcnt 0x0
	s_ashr_i32 s17, s10, 31
	s_lshr_b32 s1, s11, 16
	s_and_b32 s11, s11, 0xffff
	s_cmp_eq_u32 s0, 0
	v_mad_u32_u24 v0, v2, s1, v4
	s_cselect_b32 s12, s12, s16
	s_mov_b32 s16, s10
	s_mul_u64 s[14:15], s[14:15], s[12:13]
	s_lshl_b64 s[8:9], s[8:9], 3
	s_lshl_b64 s[14:15], s[14:15], 3
	s_mov_b32 s13, exec_lo
	s_add_nc_u64 s[6:7], s[6:7], s[14:15]
	s_delay_alu instid0(SALU_CYCLE_1) | instskip(SKIP_1) | instid1(SALU_CYCLE_1)
	s_add_nc_u64 s[8:9], s[6:7], s[8:9]
	s_lshl_b64 s[6:7], s[16:17], 3
	s_add_nc_u64 s[6:7], s[8:9], s[6:7]
	v_cmpx_gt_i32_e64 s3, v0
	s_cbranch_execz .LBB4_2
; %bb.1:
	v_mul_lo_u32 v1, v0, s10
	v_lshlrev_b32_e32 v0, 3, v0
	s_lshl_b32 s14, s11, 3
	s_delay_alu instid0(VALU_DEP_1) | instid1(SALU_CYCLE_1)
	v_add3_u32 v0, 0, s14, v0
	global_load_b64 v[6:7], v1, s[6:7] scale_offset
	s_wait_loadcnt 0x0
	ds_store_b64 v0, v[6:7]
.LBB4_2:
	s_or_b32 exec_lo, exec_lo, s13
	s_bfe_u32 s13, ttmp6, 0x4000c
	s_and_b32 s14, ttmp6, 15
	s_add_co_i32 s13, s13, 1
	v_lshl_add_u32 v0, v2, 3, 0
	s_mul_i32 s13, ttmp9, s13
	s_delay_alu instid0(SALU_CYCLE_1) | instskip(SKIP_3) | instid1(SALU_CYCLE_1)
	s_add_co_i32 s14, s14, s13
	s_cmp_eq_u32 s0, 0
	v_cmp_eq_u32_e64 s0, 0, v4
	s_cselect_b32 s13, ttmp9, s14
	s_mul_i32 s13, s13, s11
	s_delay_alu instid0(SALU_CYCLE_1) | instskip(NEXT) | instid1(VALU_DEP_1)
	v_add_nc_u32_e32 v1, s13, v2
	v_cmp_gt_i32_e32 vcc_lo, s2, v1
	s_and_b32 s2, s0, vcc_lo
	s_delay_alu instid0(SALU_CYCLE_1)
	s_and_saveexec_b32 s0, s2
	s_cbranch_execz .LBB4_4
; %bb.3:
	global_load_b64 v[6:7], v1, s[8:9] offset:8 scale_offset
	s_load_b64 s[14:15], s[4:5], s12 offset:0x0 scale_offset
	s_wait_kmcnt 0x0
	v_mov_b64_e32 v[8:9], s[14:15]
	s_wait_loadcnt 0x0
	s_delay_alu instid0(VALU_DEP_1) | instskip(NEXT) | instid1(VALU_DEP_1)
	v_pk_mul_f32 v[10:11], v[8:9], v[6:7] op_sel:[1,1] op_sel_hi:[0,1]
	v_pk_fma_f32 v[12:13], v[8:9], v[6:7], v[10:11] op_sel_hi:[1,0,1]
	v_pk_fma_f32 v[6:7], v[8:9], v[6:7], v[10:11] neg_lo:[0,0,1] neg_hi:[0,0,1]
	s_delay_alu instid0(VALU_DEP_2)
	v_mov_b32_e32 v7, v13
	ds_store_b64 v0, v[6:7]
	global_store_b64 v1, v[6:7], s[8:9] offset:8 scale_offset
.LBB4_4:
	s_wait_xcnt 0x0
	s_or_b32 exec_lo, exec_lo, s0
	v_cmp_gt_i32_e64 s0, s3, v4
	s_wait_storecnt_dscnt 0x0
	s_barrier_signal -1
	s_barrier_wait -1
	s_and_b32 s0, vcc_lo, s0
	s_delay_alu instid0(SALU_CYCLE_1)
	s_and_saveexec_b32 s2, s0
	s_cbranch_execz .LBB4_7
; %bb.5:
	ds_load_b64 v[0:1], v0
	v_mul_lo_u32 v3, v4, s10
	v_lshlrev_b32_e32 v6, 3, v4
	s_lshl_b32 s0, s11, 3
	s_mul_i32 s2, s10, s1
	s_lshl_b32 s4, s1, 3
	s_delay_alu instid0(VALU_DEP_2)
	v_add3_u32 v5, v2, v3, s13
	s_wait_dscnt 0x0
	v_dual_mov_b32 v2, v0 :: v_dual_mov_b32 v3, v0
	v_mov_b32_e32 v0, v1
	v_add3_u32 v6, 0, s0, v6
	s_mov_b32 s0, 0
.LBB4_6:                                ; =>This Inner Loop Header: Depth=1
	global_load_b64 v[8:9], v5, s[6:7] offset:8 scale_offset
	ds_load_b64 v[10:11], v6
	v_dual_add_nc_u32 v4, s1, v4 :: v_dual_add_nc_u32 v6, s4, v6
	s_delay_alu instid0(VALU_DEP_1) | instskip(SKIP_3) | instid1(VALU_DEP_1)
	v_cmp_le_i32_e32 vcc_lo, s3, v4
	s_or_b32 s0, vcc_lo, s0
	s_wait_dscnt 0x0
	v_pk_mul_f32 v[12:13], v[10:11], v[0:1] op_sel:[1,0] op_sel_hi:[0,1]
	v_pk_fma_f32 v[14:15], v[10:11], v[2:3], v[12:13]
	v_pk_fma_f32 v[10:11], v[10:11], v[2:3], v[12:13] neg_lo:[0,0,1] neg_hi:[0,0,1]
	s_delay_alu instid0(VALU_DEP_2) | instskip(SKIP_1) | instid1(VALU_DEP_1)
	v_mov_b32_e32 v11, v15
	s_wait_loadcnt 0x0
	v_pk_add_f32 v[8:9], v[8:9], v[10:11] neg_lo:[0,1] neg_hi:[0,1]
	global_store_b64 v5, v[8:9], s[6:7] offset:8 scale_offset
	s_wait_xcnt 0x0
	v_add_nc_u32_e32 v5, s2, v5
	s_and_not1_b32 exec_lo, exec_lo, s0
	s_cbranch_execnz .LBB4_6
.LBB4_7:
	s_endpgm
	.section	.rodata,"a",@progbits
	.p2align	6, 0x0
	.amdhsa_kernel _ZN9rocsolver6v33100L25getf2_scale_update_kernelI19rocblas_complex_numIfEiPS3_EEvT0_S5_PT_T1_lS5_l
		.amdhsa_group_segment_fixed_size 0
		.amdhsa_private_segment_fixed_size 0
		.amdhsa_kernarg_size 304
		.amdhsa_user_sgpr_count 2
		.amdhsa_user_sgpr_dispatch_ptr 0
		.amdhsa_user_sgpr_queue_ptr 0
		.amdhsa_user_sgpr_kernarg_segment_ptr 1
		.amdhsa_user_sgpr_dispatch_id 0
		.amdhsa_user_sgpr_kernarg_preload_length 0
		.amdhsa_user_sgpr_kernarg_preload_offset 0
		.amdhsa_user_sgpr_private_segment_size 0
		.amdhsa_wavefront_size32 1
		.amdhsa_uses_dynamic_stack 0
		.amdhsa_enable_private_segment 0
		.amdhsa_system_sgpr_workgroup_id_x 1
		.amdhsa_system_sgpr_workgroup_id_y 0
		.amdhsa_system_sgpr_workgroup_id_z 1
		.amdhsa_system_sgpr_workgroup_info 0
		.amdhsa_system_vgpr_workitem_id 1
		.amdhsa_next_free_vgpr 16
		.amdhsa_next_free_sgpr 18
		.amdhsa_named_barrier_count 0
		.amdhsa_reserve_vcc 1
		.amdhsa_float_round_mode_32 0
		.amdhsa_float_round_mode_16_64 0
		.amdhsa_float_denorm_mode_32 3
		.amdhsa_float_denorm_mode_16_64 3
		.amdhsa_fp16_overflow 0
		.amdhsa_memory_ordered 1
		.amdhsa_forward_progress 1
		.amdhsa_inst_pref_size 6
		.amdhsa_round_robin_scheduling 0
		.amdhsa_exception_fp_ieee_invalid_op 0
		.amdhsa_exception_fp_denorm_src 0
		.amdhsa_exception_fp_ieee_div_zero 0
		.amdhsa_exception_fp_ieee_overflow 0
		.amdhsa_exception_fp_ieee_underflow 0
		.amdhsa_exception_fp_ieee_inexact 0
		.amdhsa_exception_int_div_zero 0
	.end_amdhsa_kernel
	.section	.text._ZN9rocsolver6v33100L25getf2_scale_update_kernelI19rocblas_complex_numIfEiPS3_EEvT0_S5_PT_T1_lS5_l,"axG",@progbits,_ZN9rocsolver6v33100L25getf2_scale_update_kernelI19rocblas_complex_numIfEiPS3_EEvT0_S5_PT_T1_lS5_l,comdat
.Lfunc_end4:
	.size	_ZN9rocsolver6v33100L25getf2_scale_update_kernelI19rocblas_complex_numIfEiPS3_EEvT0_S5_PT_T1_lS5_l, .Lfunc_end4-_ZN9rocsolver6v33100L25getf2_scale_update_kernelI19rocblas_complex_numIfEiPS3_EEvT0_S5_PT_T1_lS5_l
                                        ; -- End function
	.set _ZN9rocsolver6v33100L25getf2_scale_update_kernelI19rocblas_complex_numIfEiPS3_EEvT0_S5_PT_T1_lS5_l.num_vgpr, 16
	.set _ZN9rocsolver6v33100L25getf2_scale_update_kernelI19rocblas_complex_numIfEiPS3_EEvT0_S5_PT_T1_lS5_l.num_agpr, 0
	.set _ZN9rocsolver6v33100L25getf2_scale_update_kernelI19rocblas_complex_numIfEiPS3_EEvT0_S5_PT_T1_lS5_l.numbered_sgpr, 18
	.set _ZN9rocsolver6v33100L25getf2_scale_update_kernelI19rocblas_complex_numIfEiPS3_EEvT0_S5_PT_T1_lS5_l.num_named_barrier, 0
	.set _ZN9rocsolver6v33100L25getf2_scale_update_kernelI19rocblas_complex_numIfEiPS3_EEvT0_S5_PT_T1_lS5_l.private_seg_size, 0
	.set _ZN9rocsolver6v33100L25getf2_scale_update_kernelI19rocblas_complex_numIfEiPS3_EEvT0_S5_PT_T1_lS5_l.uses_vcc, 1
	.set _ZN9rocsolver6v33100L25getf2_scale_update_kernelI19rocblas_complex_numIfEiPS3_EEvT0_S5_PT_T1_lS5_l.uses_flat_scratch, 0
	.set _ZN9rocsolver6v33100L25getf2_scale_update_kernelI19rocblas_complex_numIfEiPS3_EEvT0_S5_PT_T1_lS5_l.has_dyn_sized_stack, 0
	.set _ZN9rocsolver6v33100L25getf2_scale_update_kernelI19rocblas_complex_numIfEiPS3_EEvT0_S5_PT_T1_lS5_l.has_recursion, 0
	.set _ZN9rocsolver6v33100L25getf2_scale_update_kernelI19rocblas_complex_numIfEiPS3_EEvT0_S5_PT_T1_lS5_l.has_indirect_call, 0
	.section	.AMDGPU.csdata,"",@progbits
; Kernel info:
; codeLenInByte = 660
; TotalNumSgprs: 20
; NumVgprs: 16
; ScratchSize: 0
; MemoryBound: 0
; FloatMode: 240
; IeeeMode: 1
; LDSByteSize: 0 bytes/workgroup (compile time only)
; SGPRBlocks: 0
; VGPRBlocks: 0
; NumSGPRsForWavesPerEU: 20
; NumVGPRsForWavesPerEU: 16
; NamedBarCnt: 0
; Occupancy: 16
; WaveLimiterHint : 0
; COMPUTE_PGM_RSRC2:SCRATCH_EN: 0
; COMPUTE_PGM_RSRC2:USER_SGPR: 2
; COMPUTE_PGM_RSRC2:TRAP_HANDLER: 0
; COMPUTE_PGM_RSRC2:TGID_X_EN: 1
; COMPUTE_PGM_RSRC2:TGID_Y_EN: 0
; COMPUTE_PGM_RSRC2:TGID_Z_EN: 1
; COMPUTE_PGM_RSRC2:TIDIG_COMP_CNT: 1
	.section	.text._ZN9rocsolver6v33100L25getf2_scale_update_kernelI19rocblas_complex_numIfEiPKPS3_EEvT0_S7_PT_T1_lS7_l,"axG",@progbits,_ZN9rocsolver6v33100L25getf2_scale_update_kernelI19rocblas_complex_numIfEiPKPS3_EEvT0_S7_PT_T1_lS7_l,comdat
	.globl	_ZN9rocsolver6v33100L25getf2_scale_update_kernelI19rocblas_complex_numIfEiPKPS3_EEvT0_S7_PT_T1_lS7_l ; -- Begin function _ZN9rocsolver6v33100L25getf2_scale_update_kernelI19rocblas_complex_numIfEiPKPS3_EEvT0_S7_PT_T1_lS7_l
	.p2align	8
	.type	_ZN9rocsolver6v33100L25getf2_scale_update_kernelI19rocblas_complex_numIfEiPKPS3_EEvT0_S7_PT_T1_lS7_l,@function
_ZN9rocsolver6v33100L25getf2_scale_update_kernelI19rocblas_complex_numIfEiPKPS3_EEvT0_S7_PT_T1_lS7_l: ; @_ZN9rocsolver6v33100L25getf2_scale_update_kernelI19rocblas_complex_numIfEiPKPS3_EEvT0_S7_PT_T1_lS7_l
; %bb.0:
	s_clause 0x2
	s_load_b96 s[8:10], s[0:1], 0x18
	s_load_b32 s2, s[0:1], 0x3c
	s_load_b128 s[4:7], s[0:1], 0x8
	s_bfe_u32 s3, ttmp6, 0x40014
	s_lshr_b32 s13, ttmp7, 16
	s_add_co_i32 s3, s3, 1
	s_bfe_u32 s11, ttmp6, 0x40008
	s_mul_i32 s3, s13, s3
	s_getreg_b32 s14, hwreg(HW_REG_IB_STS2, 6, 4)
	s_add_co_i32 s3, s11, s3
	v_and_b32_e32 v1, 0x3ff, v0
	v_bfe_u32 v0, v0, 10, 10
	s_wait_kmcnt 0x0
	s_ashr_i32 s17, s10, 31
	s_lshr_b32 s11, s2, 16
	s_and_b32 s12, s2, 0xffff
	s_cmp_eq_u32 s14, 0
	s_mov_b32 s16, s10
	s_cselect_b32 s13, s13, s3
	s_load_b64 s[2:3], s[0:1], 0x0
	s_load_b64 s[18:19], s[6:7], s13 offset:0x0 scale_offset
	s_wait_xcnt 0x0
	s_lshl_b64 s[0:1], s[8:9], 3
	v_mad_u32_u24 v2, v1, s11, v0
	s_wait_kmcnt 0x0
	s_add_nc_u64 s[8:9], s[18:19], s[0:1]
	s_lshl_b64 s[0:1], s[16:17], 3
	s_delay_alu instid0(SALU_CYCLE_1)
	s_add_nc_u64 s[6:7], s[8:9], s[0:1]
	s_mov_b32 s0, exec_lo
	v_cmpx_gt_i32_e64 s3, v2
	s_cbranch_execz .LBB5_2
; %bb.1:
	v_mul_lo_u32 v3, v2, s10
	v_lshlrev_b32_e32 v2, 3, v2
	s_lshl_b32 s1, s12, 3
	s_delay_alu instid0(VALU_DEP_1) | instid1(SALU_CYCLE_1)
	v_add3_u32 v2, 0, s1, v2
	flat_load_b64 v[4:5], v3, s[6:7] scale_offset
	s_wait_loadcnt_dscnt 0x0
	ds_store_b64 v2, v[4:5]
.LBB5_2:
	s_or_b32 exec_lo, exec_lo, s0
	s_bfe_u32 s0, ttmp6, 0x4000c
	s_and_b32 s1, ttmp6, 15
	s_add_co_i32 s0, s0, 1
	v_lshl_add_u32 v2, v1, 3, 0
	s_mul_i32 s0, ttmp9, s0
	s_delay_alu instid0(SALU_CYCLE_1) | instskip(SKIP_3) | instid1(SALU_CYCLE_1)
	s_add_co_i32 s1, s1, s0
	s_cmp_eq_u32 s14, 0
	v_cmp_eq_u32_e64 s0, 0, v0
	s_cselect_b32 s1, ttmp9, s1
	s_mul_i32 s1, s1, s12
	s_delay_alu instid0(SALU_CYCLE_1) | instskip(NEXT) | instid1(VALU_DEP_1)
	v_add_nc_u32_e32 v3, s1, v1
	v_cmp_gt_i32_e32 vcc_lo, s2, v3
	s_and_b32 s2, s0, vcc_lo
	s_delay_alu instid0(SALU_CYCLE_1)
	s_and_saveexec_b32 s0, s2
	s_cbranch_execz .LBB5_4
; %bb.3:
	flat_load_b64 v[4:5], v3, s[8:9] offset:8 scale_offset
	s_load_b64 s[14:15], s[4:5], s13 offset:0x0 scale_offset
	s_wait_kmcnt 0x0
	v_mov_b64_e32 v[6:7], s[14:15]
	s_wait_loadcnt_dscnt 0x0
	s_delay_alu instid0(VALU_DEP_1) | instskip(NEXT) | instid1(VALU_DEP_1)
	v_pk_mul_f32 v[8:9], v[6:7], v[4:5] op_sel:[1,1] op_sel_hi:[0,1]
	v_pk_fma_f32 v[10:11], v[6:7], v[4:5], v[8:9] op_sel_hi:[1,0,1]
	v_pk_fma_f32 v[4:5], v[6:7], v[4:5], v[8:9] neg_lo:[0,0,1] neg_hi:[0,0,1]
	s_delay_alu instid0(VALU_DEP_2)
	v_mov_b32_e32 v5, v11
	ds_store_b64 v2, v[4:5]
	flat_store_b64 v3, v[4:5], s[8:9] offset:8 scale_offset
.LBB5_4:
	s_wait_xcnt 0x0
	s_or_b32 exec_lo, exec_lo, s0
	v_cmp_gt_i32_e64 s0, s3, v0
	s_wait_storecnt_dscnt 0x0
	s_barrier_signal -1
	s_barrier_wait -1
	s_and_b32 s0, vcc_lo, s0
	s_delay_alu instid0(SALU_CYCLE_1)
	s_and_saveexec_b32 s2, s0
	s_cbranch_execz .LBB5_7
; %bb.5:
	v_mul_lo_u32 v3, v0, s10
	v_lshlrev_b32_e32 v4, 3, v0
	s_lshl_b32 s0, s12, 3
	s_lshl_b32 s2, s11, 3
	s_delay_alu instid0(VALU_DEP_2) | instskip(NEXT) | instid1(VALU_DEP_2)
	v_add3_u32 v1, v1, v3, s1
	v_add3_u32 v3, 0, s0, v4
	s_mov_b32 s0, 0
	s_mul_i32 s1, s10, s11
.LBB5_6:                                ; =>This Inner Loop Header: Depth=1
	flat_load_b64 v[4:5], v1, s[6:7] offset:8 scale_offset
	ds_load_b64 v[6:7], v2
	ds_load_b64 v[8:9], v3
	v_dual_add_nc_u32 v0, s11, v0 :: v_dual_add_nc_u32 v3, s2, v3
	s_delay_alu instid0(VALU_DEP_1) | instskip(SKIP_3) | instid1(VALU_DEP_1)
	v_cmp_le_i32_e32 vcc_lo, s3, v0
	s_or_b32 s0, vcc_lo, s0
	s_wait_dscnt 0x0
	v_pk_mul_f32 v[10:11], v[8:9], v[6:7] op_sel:[1,1] op_sel_hi:[0,1]
	v_pk_fma_f32 v[12:13], v[8:9], v[6:7], v[10:11] op_sel_hi:[1,0,1]
	v_pk_fma_f32 v[6:7], v[8:9], v[6:7], v[10:11] neg_lo:[0,0,1] neg_hi:[0,0,1]
	s_delay_alu instid0(VALU_DEP_2) | instskip(SKIP_1) | instid1(VALU_DEP_1)
	v_mov_b32_e32 v7, v13
	s_wait_loadcnt 0x0
	v_pk_add_f32 v[4:5], v[4:5], v[6:7] neg_lo:[0,1] neg_hi:[0,1]
	flat_store_b64 v1, v[4:5], s[6:7] offset:8 scale_offset
	s_wait_xcnt 0x0
	v_add_nc_u32_e32 v1, s1, v1
	s_and_not1_b32 exec_lo, exec_lo, s0
	s_cbranch_execnz .LBB5_6
.LBB5_7:
	s_endpgm
	.section	.rodata,"a",@progbits
	.p2align	6, 0x0
	.amdhsa_kernel _ZN9rocsolver6v33100L25getf2_scale_update_kernelI19rocblas_complex_numIfEiPKPS3_EEvT0_S7_PT_T1_lS7_l
		.amdhsa_group_segment_fixed_size 0
		.amdhsa_private_segment_fixed_size 0
		.amdhsa_kernarg_size 304
		.amdhsa_user_sgpr_count 2
		.amdhsa_user_sgpr_dispatch_ptr 0
		.amdhsa_user_sgpr_queue_ptr 0
		.amdhsa_user_sgpr_kernarg_segment_ptr 1
		.amdhsa_user_sgpr_dispatch_id 0
		.amdhsa_user_sgpr_kernarg_preload_length 0
		.amdhsa_user_sgpr_kernarg_preload_offset 0
		.amdhsa_user_sgpr_private_segment_size 0
		.amdhsa_wavefront_size32 1
		.amdhsa_uses_dynamic_stack 0
		.amdhsa_enable_private_segment 0
		.amdhsa_system_sgpr_workgroup_id_x 1
		.amdhsa_system_sgpr_workgroup_id_y 0
		.amdhsa_system_sgpr_workgroup_id_z 1
		.amdhsa_system_sgpr_workgroup_info 0
		.amdhsa_system_vgpr_workitem_id 1
		.amdhsa_next_free_vgpr 14
		.amdhsa_next_free_sgpr 20
		.amdhsa_named_barrier_count 0
		.amdhsa_reserve_vcc 1
		.amdhsa_float_round_mode_32 0
		.amdhsa_float_round_mode_16_64 0
		.amdhsa_float_denorm_mode_32 3
		.amdhsa_float_denorm_mode_16_64 3
		.amdhsa_fp16_overflow 0
		.amdhsa_memory_ordered 1
		.amdhsa_forward_progress 1
		.amdhsa_inst_pref_size 5
		.amdhsa_round_robin_scheduling 0
		.amdhsa_exception_fp_ieee_invalid_op 0
		.amdhsa_exception_fp_denorm_src 0
		.amdhsa_exception_fp_ieee_div_zero 0
		.amdhsa_exception_fp_ieee_overflow 0
		.amdhsa_exception_fp_ieee_underflow 0
		.amdhsa_exception_fp_ieee_inexact 0
		.amdhsa_exception_int_div_zero 0
	.end_amdhsa_kernel
	.section	.text._ZN9rocsolver6v33100L25getf2_scale_update_kernelI19rocblas_complex_numIfEiPKPS3_EEvT0_S7_PT_T1_lS7_l,"axG",@progbits,_ZN9rocsolver6v33100L25getf2_scale_update_kernelI19rocblas_complex_numIfEiPKPS3_EEvT0_S7_PT_T1_lS7_l,comdat
.Lfunc_end5:
	.size	_ZN9rocsolver6v33100L25getf2_scale_update_kernelI19rocblas_complex_numIfEiPKPS3_EEvT0_S7_PT_T1_lS7_l, .Lfunc_end5-_ZN9rocsolver6v33100L25getf2_scale_update_kernelI19rocblas_complex_numIfEiPKPS3_EEvT0_S7_PT_T1_lS7_l
                                        ; -- End function
	.set _ZN9rocsolver6v33100L25getf2_scale_update_kernelI19rocblas_complex_numIfEiPKPS3_EEvT0_S7_PT_T1_lS7_l.num_vgpr, 14
	.set _ZN9rocsolver6v33100L25getf2_scale_update_kernelI19rocblas_complex_numIfEiPKPS3_EEvT0_S7_PT_T1_lS7_l.num_agpr, 0
	.set _ZN9rocsolver6v33100L25getf2_scale_update_kernelI19rocblas_complex_numIfEiPKPS3_EEvT0_S7_PT_T1_lS7_l.numbered_sgpr, 20
	.set _ZN9rocsolver6v33100L25getf2_scale_update_kernelI19rocblas_complex_numIfEiPKPS3_EEvT0_S7_PT_T1_lS7_l.num_named_barrier, 0
	.set _ZN9rocsolver6v33100L25getf2_scale_update_kernelI19rocblas_complex_numIfEiPKPS3_EEvT0_S7_PT_T1_lS7_l.private_seg_size, 0
	.set _ZN9rocsolver6v33100L25getf2_scale_update_kernelI19rocblas_complex_numIfEiPKPS3_EEvT0_S7_PT_T1_lS7_l.uses_vcc, 1
	.set _ZN9rocsolver6v33100L25getf2_scale_update_kernelI19rocblas_complex_numIfEiPKPS3_EEvT0_S7_PT_T1_lS7_l.uses_flat_scratch, 0
	.set _ZN9rocsolver6v33100L25getf2_scale_update_kernelI19rocblas_complex_numIfEiPKPS3_EEvT0_S7_PT_T1_lS7_l.has_dyn_sized_stack, 0
	.set _ZN9rocsolver6v33100L25getf2_scale_update_kernelI19rocblas_complex_numIfEiPKPS3_EEvT0_S7_PT_T1_lS7_l.has_recursion, 0
	.set _ZN9rocsolver6v33100L25getf2_scale_update_kernelI19rocblas_complex_numIfEiPKPS3_EEvT0_S7_PT_T1_lS7_l.has_indirect_call, 0
	.section	.AMDGPU.csdata,"",@progbits
; Kernel info:
; codeLenInByte = 632
; TotalNumSgprs: 22
; NumVgprs: 14
; ScratchSize: 0
; MemoryBound: 0
; FloatMode: 240
; IeeeMode: 1
; LDSByteSize: 0 bytes/workgroup (compile time only)
; SGPRBlocks: 0
; VGPRBlocks: 0
; NumSGPRsForWavesPerEU: 22
; NumVGPRsForWavesPerEU: 14
; NamedBarCnt: 0
; Occupancy: 16
; WaveLimiterHint : 1
; COMPUTE_PGM_RSRC2:SCRATCH_EN: 0
; COMPUTE_PGM_RSRC2:USER_SGPR: 2
; COMPUTE_PGM_RSRC2:TRAP_HANDLER: 0
; COMPUTE_PGM_RSRC2:TGID_X_EN: 1
; COMPUTE_PGM_RSRC2:TGID_Y_EN: 0
; COMPUTE_PGM_RSRC2:TGID_Z_EN: 1
; COMPUTE_PGM_RSRC2:TIDIG_COMP_CNT: 1
	.section	.text._ZN9rocsolver6v33100L18getf2_panel_kernelI19rocblas_complex_numIfEllPS3_EEvT0_S5_T2_lS5_lPS5_llPT1_S5_S5_S7_l,"axG",@progbits,_ZN9rocsolver6v33100L18getf2_panel_kernelI19rocblas_complex_numIfEllPS3_EEvT0_S5_T2_lS5_lPS5_llPT1_S5_S5_S7_l,comdat
	.globl	_ZN9rocsolver6v33100L18getf2_panel_kernelI19rocblas_complex_numIfEllPS3_EEvT0_S5_T2_lS5_lPS5_llPT1_S5_S5_S7_l ; -- Begin function _ZN9rocsolver6v33100L18getf2_panel_kernelI19rocblas_complex_numIfEllPS3_EEvT0_S5_T2_lS5_lPS5_llPT1_S5_S5_S7_l
	.p2align	8
	.type	_ZN9rocsolver6v33100L18getf2_panel_kernelI19rocblas_complex_numIfEllPS3_EEvT0_S5_T2_lS5_lPS5_llPT1_S5_S5_S7_l,@function
_ZN9rocsolver6v33100L18getf2_panel_kernelI19rocblas_complex_numIfEllPS3_EEvT0_S5_T2_lS5_lPS5_llPT1_S5_S5_S7_l: ; @_ZN9rocsolver6v33100L18getf2_panel_kernelI19rocblas_complex_numIfEllPS3_EEvT0_S5_T2_lS5_lPS5_llPT1_S5_S5_S7_l
; %bb.0:
	s_clause 0x2
	s_load_b128 s[20:23], s[0:1], 0x58
	s_load_b64 s[2:3], s[0:1], 0x68
	s_load_b32 s40, s[0:1], 0x7c
	s_bfe_u32 s4, ttmp6, 0x40014
	s_lshr_b32 s5, ttmp7, 16
	s_add_co_i32 s4, s4, 1
	s_bfe_u32 s6, ttmp6, 0x40008
	s_mul_i32 s4, s5, s4
	s_getreg_b32 s7, hwreg(HW_REG_IB_STS2, 6, 4)
	s_add_co_i32 s6, s6, s4
	s_cmp_eq_u32 s7, 0
	s_mov_b32 s29, 0
	s_cselect_b32 s28, s5, s6
	s_mov_b64 s[30:31], 0
	s_wait_kmcnt 0x0
	s_cmp_eq_u64 s[22:23], 0
	s_cselect_b32 s33, -1, 0
	s_delay_alu instid0(SALU_CYCLE_1)
	s_and_b32 vcc_lo, exec_lo, s33
	s_cbranch_vccnz .LBB6_2
; %bb.1:
	s_mul_u64 s[2:3], s[2:3], s[28:29]
	s_delay_alu instid0(SALU_CYCLE_1) | instskip(NEXT) | instid1(SALU_CYCLE_1)
	s_lshl_b64 s[2:3], s[2:3], 3
	s_add_nc_u64 s[30:31], s[22:23], s[2:3]
.LBB6_2:
	s_load_b512 s[4:19], s[0:1], 0x0
	v_bfe_u32 v4, v0, 10, 10
	s_and_b32 s3, s40, 0xffff
	v_and_b32_e32 v2, 0x3ff, v0
	s_lshl_b32 s2, s3, 3
	v_mov_b32_e32 v3, 0
	s_add_co_i32 s42, s2, 8
	v_cmp_eq_u32_e64 s2, 0, v4
	s_lshl_b32 s22, s3, 2
                                        ; implicit-def: $vgpr26
	s_wait_kmcnt 0x0
	s_mul_u64 s[14:15], s[14:15], s[28:29]
	s_lshl_b64 s[34:35], s[10:11], 3
	s_lshl_b64 s[38:39], s[14:15], 3
	s_lshl_b32 s14, s6, 3
	s_add_nc_u64 s[10:11], s[8:9], s[38:39]
	s_add_co_i32 s43, s42, s14
	s_add_nc_u64 s[36:37], s[10:11], s[34:35]
	s_add_co_i32 s41, s43, s22
	s_and_saveexec_b32 s10, s2
	s_cbranch_execz .LBB6_6
; %bb.3:
	v_dual_mov_b32 v0, v3 :: v_dual_mov_b32 v1, v3
	s_mov_b32 s11, exec_lo
	v_cmpx_gt_i64_e64 s[4:5], v[2:3]
	s_cbranch_execz .LBB6_5
; %bb.4:
	global_load_b64 v[0:1], v2, s[36:37] scale_offset
.LBB6_5:
	s_wait_xcnt 0x0
	s_or_b32 exec_lo, exec_lo, s11
	s_wait_loadcnt 0x0
	v_cmp_gt_f32_e32 vcc_lo, 0, v1
	v_dual_lshlrev_b32 v5, 3, v2 :: v_dual_cndmask_b32 v6, v1, -v1, vcc_lo
	v_cmp_gt_f32_e32 vcc_lo, 0, v0
	s_delay_alu instid0(VALU_DEP_2) | instskip(SKIP_1) | instid1(VALU_DEP_1)
	v_dual_add_nc_u32 v8, 8, v5 :: v_dual_add_nc_u32 v5, s41, v5
	v_cndmask_b32_e64 v7, v0, -v0, vcc_lo
	v_add_f32_e32 v26, v7, v6
	v_lshl_add_u32 v6, v2, 2, s43
	ds_store_b64 v8, v[0:1]
	ds_store_b32 v6, v26
	ds_store_b64 v5, v[2:3]
.LBB6_6:
	s_or_b32 exec_lo, exec_lo, s10
	s_load_b128 s[24:27], s[0:1], 0x40
	s_wait_xcnt 0x0
	v_cmp_lt_i64_e64 s0, s[6:7], 1
	s_and_b32 vcc_lo, exec_lo, s0
	s_cbranch_vccnz .LBB6_56
; %bb.7:
	v_dual_mov_b32 v1, 0 :: v_dual_add_nc_u32 v0, 2, v4
	v_mul_u64_e32 v[10:11], s[12:13], v[2:3]
	v_dual_lshlrev_b32 v8, 3, v2 :: v_dual_bitop2_b32 v5, v2, v4 bitop3:0x54
	s_wait_kmcnt 0x0
	s_mul_u64 s[24:25], s[24:25], s[28:29]
	v_mul_u64_e32 v[6:7], s[12:13], v[0:1]
	v_cmp_gt_i64_e64 s0, s[4:5], v[2:3]
	v_cmp_le_i64_e64 s1, s[4:5], v[2:3]
	s_add_nc_u64 s[4:5], s[34:35], s[38:39]
	s_lshr_b32 s10, s40, 16
	s_lshl_b64 s[44:45], s[18:19], 3
	s_lshr_b32 s14, s3, 1
	s_lshl_b64 s[24:25], s[24:25], 3
	v_dual_mov_b32 v9, v1 :: v_dual_lshlrev_b32 v14, 3, v4
	s_cmp_gt_u32 s3, 1
	v_cmp_eq_u32_e64 s3, 0, v5
	v_cmp_gt_u64_e32 vcc_lo, s[6:7], v[2:3]
	v_dual_add_nc_u32 v28, s41, v8 :: v_dual_add_nc_u32 v29, 8, v8
	v_dual_add_nc_u32 v30, s42, v8 :: v_dual_mov_b32 v32, s41
	s_mov_b32 s11, 0
	v_lshl_add_u32 v27, v2, 2, s43
	v_add3_u32 v31, s42, v14, 16
	s_mul_u64 s[34:35], s[12:13], s[10:11]
	s_add_nc_u64 s[38:39], s[16:17], s[24:25]
	s_add_nc_u64 s[18:19], s[20:21], 1
	s_add_nc_u64 s[22:23], s[6:7], -1
	s_mov_b32 s15, s11
	s_cselect_b32 s29, -1, 0
	s_lshl_b64 s[16:17], s[12:13], 3
	s_lshl_b64 s[24:25], s[34:35], 3
	s_add_nc_u64 s[34:35], s[38:39], s[44:45]
	s_and_b32 s44, s2, vcc_lo
	s_lshl_b32 s45, s10, 3
	v_lshl_add_u64 v[4:5], v[6:7], 3, s[4:5]
	v_add_nc_u64_e32 v[6:7], s[30:31], v[8:9]
	s_delay_alu instid0(VALU_DEP_2) | instskip(SKIP_3) | instid1(VALU_DEP_3)
	v_add_nc_u64_e32 v[12:13], v[4:5], v[8:9]
	v_add_nc_u64_e32 v[4:5], s[36:37], v[8:9]
	v_lshl_add_u64 v[8:9], v[10:11], 3, s[36:37]
	s_mov_b64 s[36:37], 0
	v_add_nc_u64_e32 v[10:11], s[8:9], v[12:13]
	v_mov_b64_e32 v[12:13], 0
	s_mov_b64 s[8:9], 0
.LBB6_8:                                ; =>This Loop Header: Depth=1
                                        ;     Child Loop BB6_14 Depth 2
                                        ;     Child Loop BB6_51 Depth 2
	v_mov_b64_e32 v[14:15], v[2:3]
	s_and_not1_b32 vcc_lo, exec_lo, s29
	s_mov_b64 s[38:39], s[14:15]
	s_wait_dscnt 0x0
	s_barrier_signal -1
	s_barrier_wait -1
	s_cbranch_vccz .LBB6_14
.LBB6_9:                                ;   in Loop: Header=BB6_8 Depth=1
	ds_load_b64 v[14:15], v32
	s_wait_dscnt 0x0
	v_lshlrev_b32_e32 v16, 3, v14
	v_readfirstlane_b32 s40, v14
	v_readfirstlane_b32 s41, v15
	s_delay_alu instid0(VALU_DEP_3)
	v_add_nc_u32_e32 v16, 8, v16
	ds_load_b64 v[16:17], v16
	s_wait_dscnt 0x0
	v_readfirstlane_b32 s4, v16
	v_readfirstlane_b32 s5, v17
	s_cmp_eq_f32 s4, 0
	s_cselect_b32 s38, -1, 0
	s_cmp_eq_f32 s5, 0
	s_cselect_b32 s39, -1, 0
	s_delay_alu instid0(SALU_CYCLE_1) | instskip(NEXT) | instid1(SALU_CYCLE_1)
	s_and_b32 s38, s38, s39
	s_and_not1_b32 vcc_lo, exec_lo, s38
	s_cbranch_vccz .LBB6_19
; %bb.10:                               ;   in Loop: Header=BB6_8 Depth=1
	s_and_b32 s38, s4, 0x7fffffff
	s_and_b32 s39, s5, 0x7fffffff
	s_delay_alu instid0(SALU_CYCLE_1)
	s_cmp_ngt_f32 s38, s39
	s_cbranch_scc0 .LBB6_20
; %bb.11:                               ;   in Loop: Header=BB6_8 Depth=1
	v_div_scale_f32 v14, null, s5, s5, s4
	v_div_scale_f32 v17, vcc_lo, s4, s5, s4
	s_delay_alu instid0(VALU_DEP_2)
	v_rcp_f32_e32 v15, v14
	v_nop
	v_xor_b32_e32 v14, 0x80000000, v14
	s_delay_alu instid0(TRANS32_DEP_1) | instid1(VALU_DEP_1)
	v_fma_f32 v16, v14, v15, 1.0
	s_delay_alu instid0(VALU_DEP_1) | instskip(NEXT) | instid1(VALU_DEP_1)
	v_fmac_f32_e32 v15, v16, v15
	v_mul_f32_e32 v16, v17, v15
	s_delay_alu instid0(VALU_DEP_1) | instskip(NEXT) | instid1(VALU_DEP_1)
	v_fma_f32 v18, v14, v16, v17
	v_fmac_f32_e32 v16, v18, v15
	s_delay_alu instid0(VALU_DEP_1) | instskip(NEXT) | instid1(VALU_DEP_1)
	v_fmac_f32_e32 v17, v14, v16
	v_div_fmas_f32 v14, v17, v15, v16
	s_delay_alu instid0(VALU_DEP_1) | instskip(NEXT) | instid1(VALU_DEP_1)
	v_div_fixup_f32 v14, v14, s5, s4
	v_fma_f32 v15, s4, v14, s5
	s_delay_alu instid0(VALU_DEP_1) | instskip(SKIP_1) | instid1(VALU_DEP_2)
	v_div_scale_f32 v16, null, v15, v15, 1.0
	v_div_scale_f32 v19, vcc_lo, 1.0, v15, 1.0
	v_rcp_f32_e32 v17, v16
	v_nop
	v_xor_b32_e32 v16, 0x80000000, v16
	s_delay_alu instid0(TRANS32_DEP_1) | instid1(VALU_DEP_1)
	v_fma_f32 v18, v16, v17, 1.0
	s_delay_alu instid0(VALU_DEP_1) | instskip(NEXT) | instid1(VALU_DEP_1)
	v_fmac_f32_e32 v17, v18, v17
	v_mul_f32_e32 v18, v19, v17
	s_delay_alu instid0(VALU_DEP_1) | instskip(NEXT) | instid1(VALU_DEP_1)
	v_fma_f32 v20, v16, v18, v19
	v_fmac_f32_e32 v18, v20, v17
	s_delay_alu instid0(VALU_DEP_1) | instskip(NEXT) | instid1(VALU_DEP_1)
	v_fmac_f32_e32 v19, v16, v18
	v_div_fmas_f32 v16, v19, v17, v18
	s_delay_alu instid0(VALU_DEP_1) | instskip(NEXT) | instid1(VALU_DEP_1)
	v_div_fixup_f32 v15, v16, v15, 1.0
	v_mul_f32_e32 v14, v14, v15
	v_xor_b32_e32 v15, 0x80000000, v15
	s_delay_alu instid0(VALU_DEP_1)
	v_mov_b64_e32 v[16:17], v[14:15]
	s_cbranch_execz .LBB6_21
	s_branch .LBB6_22
.LBB6_12:                               ;   in Loop: Header=BB6_14 Depth=2
	s_or_b32 exec_lo, exec_lo, s4
.LBB6_13:                               ;   in Loop: Header=BB6_14 Depth=2
	s_delay_alu instid0(SALU_CYCLE_1)
	s_or_b32 exec_lo, exec_lo, s5
	v_cmp_lt_u64_e64 s4, s[38:39], 2
	s_lshr_b64 s[38:39], s[38:39], 1
	s_wait_dscnt 0x0
	s_barrier_signal -1
	s_barrier_wait -1
	s_and_b32 vcc_lo, exec_lo, s4
	s_cbranch_vccnz .LBB6_9
.LBB6_14:                               ;   Parent Loop BB6_8 Depth=1
                                        ; =>  This Inner Loop Header: Depth=2
	v_cmp_gt_u64_e32 vcc_lo, s[38:39], v[2:3]
	s_and_b32 s4, s2, vcc_lo
	s_delay_alu instid0(SALU_CYCLE_1)
	s_and_saveexec_b32 s5, s4
	s_cbranch_execz .LBB6_13
; %bb.15:                               ;   in Loop: Header=BB6_14 Depth=2
	v_lshl_add_u32 v16, s38, 2, v27
	s_mov_b32 s41, exec_lo
	ds_load_b32 v18, v16
	v_lshl_add_u32 v16, s38, 3, v28
	ds_load_b64 v[16:17], v16
	s_wait_dscnt 0x1
	v_cmp_lt_f32_e64 s40, v26, v18
	v_cmpx_nlt_f32_e32 v26, v18
	s_cbranch_execz .LBB6_17
; %bb.16:                               ;   in Loop: Header=BB6_14 Depth=2
	s_wait_dscnt 0x0
	v_cmp_gt_i64_e32 vcc_lo, v[14:15], v[16:17]
	v_cmp_eq_f32_e64 s4, v26, v18
	s_and_not1_b32 s40, s40, exec_lo
	s_and_b32 s4, s4, vcc_lo
	s_delay_alu instid0(SALU_CYCLE_1) | instskip(NEXT) | instid1(SALU_CYCLE_1)
	s_and_b32 s4, s4, exec_lo
	s_or_b32 s40, s40, s4
.LBB6_17:                               ;   in Loop: Header=BB6_14 Depth=2
	s_or_b32 exec_lo, exec_lo, s41
	s_and_saveexec_b32 s4, s40
	s_cbranch_execz .LBB6_12
; %bb.18:                               ;   in Loop: Header=BB6_14 Depth=2
	s_wait_dscnt 0x0
	v_mov_b64_e32 v[14:15], v[16:17]
	v_mov_b32_e32 v26, v18
	ds_store_b32 v27, v18
	ds_store_b64 v28, v[16:17]
	s_branch .LBB6_12
.LBB6_19:                               ;   in Loop: Header=BB6_8 Depth=1
                                        ; implicit-def: $vgpr15
                                        ; implicit-def: $vgpr16_vgpr17
	s_add_nc_u64 s[38:39], s[36:37], 1
	s_branch .LBB6_23
.LBB6_20:                               ;   in Loop: Header=BB6_8 Depth=1
                                        ; implicit-def: $vgpr15
                                        ; implicit-def: $vgpr16_vgpr17
.LBB6_21:                               ;   in Loop: Header=BB6_8 Depth=1
	v_div_scale_f32 v14, null, s4, s4, s5
	v_div_scale_f32 v17, vcc_lo, s5, s4, s5
	s_delay_alu instid0(VALU_DEP_2)
	v_rcp_f32_e32 v15, v14
	v_nop
	v_xor_b32_e32 v14, 0x80000000, v14
	s_delay_alu instid0(TRANS32_DEP_1) | instid1(VALU_DEP_1)
	v_fma_f32 v16, v14, v15, 1.0
	s_delay_alu instid0(VALU_DEP_1) | instskip(NEXT) | instid1(VALU_DEP_1)
	v_fmac_f32_e32 v15, v16, v15
	v_mul_f32_e32 v16, v17, v15
	s_delay_alu instid0(VALU_DEP_1) | instskip(NEXT) | instid1(VALU_DEP_1)
	v_fma_f32 v18, v14, v16, v17
	v_fmac_f32_e32 v16, v18, v15
	s_delay_alu instid0(VALU_DEP_1) | instskip(NEXT) | instid1(VALU_DEP_1)
	v_fmac_f32_e32 v17, v14, v16
	v_div_fmas_f32 v14, v17, v15, v16
	s_delay_alu instid0(VALU_DEP_1) | instskip(NEXT) | instid1(VALU_DEP_1)
	v_div_fixup_f32 v15, v14, s4, s5
	v_fma_f32 v14, s5, v15, s4
	s_delay_alu instid0(VALU_DEP_1) | instskip(NEXT) | instid1(VALU_DEP_1)
	v_div_scale_f32 v16, null, v14, v14, 1.0
	v_rcp_f32_e32 v17, v16
	v_nop
	v_xor_b32_e32 v16, 0x80000000, v16
	s_delay_alu instid0(TRANS32_DEP_1) | instid1(VALU_DEP_1)
	v_fma_f32 v18, v16, v17, 1.0
	s_delay_alu instid0(VALU_DEP_1) | instskip(SKIP_1) | instid1(VALU_DEP_1)
	v_fmac_f32_e32 v17, v18, v17
	v_div_scale_f32 v18, vcc_lo, 1.0, v14, 1.0
	v_mul_f32_e32 v19, v18, v17
	s_delay_alu instid0(VALU_DEP_1) | instskip(NEXT) | instid1(VALU_DEP_1)
	v_fma_f32 v20, v16, v19, v18
	v_fmac_f32_e32 v19, v20, v17
	s_delay_alu instid0(VALU_DEP_1) | instskip(NEXT) | instid1(VALU_DEP_1)
	v_fmac_f32_e32 v18, v16, v19
	v_div_fmas_f32 v16, v18, v17, v19
	s_delay_alu instid0(VALU_DEP_1) | instskip(NEXT) | instid1(VALU_DEP_1)
	v_div_fixup_f32 v14, v16, v14, 1.0
	v_xor_b32_e32 v16, 0x80000000, v14
	s_delay_alu instid0(VALU_DEP_1) | instskip(NEXT) | instid1(VALU_DEP_1)
	v_mul_f32_e32 v15, v15, v16
	v_mov_b64_e32 v[16:17], v[14:15]
.LBB6_22:                               ;   in Loop: Header=BB6_8 Depth=1
	s_add_nc_u64 s[38:39], s[36:37], 1
	s_cbranch_execnz .LBB6_24
.LBB6_23:                               ;   in Loop: Header=BB6_8 Depth=1
	v_mov_b64_e32 v[16:17], s[4:5]
	v_dual_mov_b32 v14, s4 :: v_dual_mov_b32 v15, s5
	s_add_nc_u64 s[40:41], s[36:37], 1
	s_cmp_eq_u64 s[8:9], 0
	s_cselect_b32 s9, s41, s9
	s_cselect_b32 s8, s40, s8
	s_mov_b64 s[40:41], s[36:37]
.LBB6_24:                               ;   in Loop: Header=BB6_8 Depth=1
	s_and_saveexec_b32 s4, s3
	s_cbranch_execz .LBB6_26
; %bb.25:                               ;   in Loop: Header=BB6_8 Depth=1
	s_add_nc_u64 s[46:47], s[18:19], s[40:41]
	s_delay_alu instid0(SALU_CYCLE_1) | instskip(SKIP_1) | instid1(SALU_CYCLE_1)
	v_mov_b64_e32 v[18:19], s[46:47]
	s_lshl_b64 s[46:47], s[36:37], 3
	s_add_nc_u64 s[46:47], s[34:35], s[46:47]
	global_store_b64 v1, v[18:19], s[46:47]
.LBB6_26:                               ;   in Loop: Header=BB6_8 Depth=1
	s_wait_xcnt 0x0
	s_or_b32 exec_lo, exec_lo, s4
	s_delay_alu instid0(SALU_CYCLE_1)
	s_mov_b32 s5, exec_lo
	v_cmp_eq_u64_e32 vcc_lo, s[40:41], v[2:3]
	v_cmpx_ne_u64_e64 s[40:41], v[2:3]
	s_cbranch_execz .LBB6_30
; %bb.27:                               ;   in Loop: Header=BB6_8 Depth=1
	ds_load_b64 v[18:19], v29
	v_cmp_le_u64_e64 s4, s[36:37], v[2:3]
	s_and_b32 s4, s0, s4
	s_delay_alu instid0(SALU_CYCLE_1) | instskip(SKIP_2) | instid1(VALU_DEP_1)
	s_and_b32 s46, s2, s4
	s_wait_dscnt 0x0
	v_pk_mul_f32 v[20:21], v[16:17], v[18:19] op_sel:[1,1] op_sel_hi:[1,0]
	v_pk_fma_f32 v[14:15], v[16:17], v[18:19], v[20:21] op_sel_hi:[0,1,1] neg_lo:[0,0,1] neg_hi:[0,0,1]
	v_pk_fma_f32 v[16:17], v[16:17], v[18:19], v[20:21] op_sel_hi:[0,1,1]
	s_and_saveexec_b32 s4, s46
	s_cbranch_execz .LBB6_29
; %bb.28:                               ;   in Loop: Header=BB6_8 Depth=1
	s_mul_u64 s[46:47], s[36:37], s[12:13]
	s_delay_alu instid0(VALU_DEP_1)
	v_mov_b32_e32 v15, v17
	v_lshl_add_u64 v[18:19], s[46:47], 3, v[4:5]
	global_store_b64 v[18:19], v[14:15], off
.LBB6_29:                               ;   in Loop: Header=BB6_8 Depth=1
	s_wait_xcnt 0x0
	s_or_b32 exec_lo, exec_lo, s4
	v_mov_b32_e32 v15, v17
.LBB6_30:                               ;   in Loop: Header=BB6_8 Depth=1
	s_or_b32 exec_lo, exec_lo, s5
	v_lshl_add_u64 v[16:17], s[40:41], 3, v[8:9]
	s_and_saveexec_b32 s5, s44
	s_cbranch_execz .LBB6_33
; %bb.31:                               ;   in Loop: Header=BB6_8 Depth=1
	global_load_b64 v[18:19], v[16:17], off
	v_cmp_eq_u64_e64 s4, s[36:37], v[2:3]
	s_wait_loadcnt 0x0
	ds_store_b64 v30, v[18:19]
	s_wait_xcnt 0x0
	s_and_b32 exec_lo, exec_lo, s4
; %bb.32:                               ;   in Loop: Header=BB6_8 Depth=1
	ds_store_b64 v1, v[14:15]
.LBB6_33:                               ;   in Loop: Header=BB6_8 Depth=1
	s_or_b32 exec_lo, exec_lo, s5
	s_cmp_lg_u64 s[40:41], s[36:37]
	s_wait_storecnt_dscnt 0x0
	s_cselect_b32 s4, -1, 0
	s_barrier_signal -1
	s_and_b32 s4, s44, s4
	s_barrier_wait -1
	s_and_saveexec_b32 s46, s4
	s_cbranch_execz .LBB6_43
; %bb.34:                               ;   in Loop: Header=BB6_8 Depth=1
	s_mov_b64 s[4:5], src_shared_base
	v_cmp_ne_u64_e64 s4, s[36:37], v[2:3]
	v_lshl_add_u64 v[18:19], s[36:37], 3, v[8:9]
                                        ; implicit-def: $vgpr22_vgpr23
	s_delay_alu instid0(VALU_DEP_1) | instskip(NEXT) | instid1(VALU_DEP_2)
	v_cndmask_b32_e64 v21, s5, v19, s4
	v_cndmask_b32_e64 v20, 0, v18, s4
	v_cmp_ge_u64_e64 s5, s[36:37], v[2:3]
	flat_load_b64 v[20:21], v[20:21]
	s_wait_xcnt 0x0
	s_and_saveexec_b32 s47, s5
	s_delay_alu instid0(SALU_CYCLE_1)
	s_xor_b32 s5, exec_lo, s47
; %bb.35:                               ;   in Loop: Header=BB6_8 Depth=1
	ds_load_b64 v[22:23], v30
; %bb.36:                               ;   in Loop: Header=BB6_8 Depth=1
	s_or_saveexec_b32 s5, s5
	v_dual_mov_b32 v24, 0 :: v_dual_mov_b32 v25, 0
	s_xor_b32 exec_lo, exec_lo, s5
	s_cbranch_execz .LBB6_38
; %bb.37:                               ;   in Loop: Header=BB6_8 Depth=1
	ds_load_b64 v[24:25], v1
	s_wait_dscnt 0x1
	ds_load_b64 v[22:23], v30
	s_wait_dscnt 0x0
	v_pk_mul_f32 v[34:35], v[22:23], v[24:25] op_sel:[1,1] op_sel_hi:[0,1]
	v_pk_mul_f32 v[36:37], v[22:23], v[24:25] op_sel_hi:[1,0]
	s_delay_alu instid0(VALU_DEP_2) | instskip(NEXT) | instid1(VALU_DEP_2)
	v_pk_fma_f32 v[24:25], v[22:23], v[24:25], v[34:35] op_sel_hi:[1,0,1]
	v_sub_f32_e32 v24, v36, v34
.LBB6_38:                               ;   in Loop: Header=BB6_8 Depth=1
	s_or_b32 exec_lo, exec_lo, s5
	s_wait_loadcnt_dscnt 0x0
	s_delay_alu instid0(VALU_DEP_1)
	v_pk_add_f32 v[20:21], v[20:21], v[24:25] neg_lo:[0,1] neg_hi:[0,1]
	s_add_nc_u64 s[48:49], s[36:37], 1
	s_mov_b32 s47, exec_lo
	s_clause 0x1
	global_store_b64 v[16:17], v[20:21], off
	global_store_b64 v[18:19], v[22:23], off
	s_wait_xcnt 0x0
	v_cmpx_eq_u64_e64 s[48:49], v[2:3]
	s_cbranch_execz .LBB6_40
; %bb.39:                               ;   in Loop: Header=BB6_8 Depth=1
	v_cmp_gt_f32_e64 s5, 0, v20
	s_lshl_b32 s48, s40, 3
	v_cndmask_b32_e64 v16, v20, -v20, s5
	v_cmp_gt_f32_e64 s5, 0, v21
	s_delay_alu instid0(VALU_DEP_1) | instskip(SKIP_4) | instid1(SALU_CYCLE_1)
	v_cndmask_b32_e64 v17, v21, -v21, s5
	s_add_co_i32 s5, s48, 8
	s_lshl_b32 s48, s40, 2
	v_mov_b32_e32 v18, s5
	s_add_co_i32 s5, s43, s48
	v_dual_add_f32 v26, v17, v16 :: v_dual_mov_b32 v16, s5
	ds_store_b64 v18, v[20:21]
	ds_store_b32 v16, v26
.LBB6_40:                               ;   in Loop: Header=BB6_8 Depth=1
	s_or_b32 exec_lo, exec_lo, s47
	s_nor_b32 s5, s33, s4
	s_delay_alu instid0(SALU_CYCLE_1)
	s_and_saveexec_b32 s4, s5
	s_cbranch_execz .LBB6_42
; %bb.41:                               ;   in Loop: Header=BB6_8 Depth=1
	s_lshl_b64 s[40:41], s[40:41], 3
	s_delay_alu instid0(SALU_CYCLE_1)
	s_add_nc_u64 s[40:41], s[30:31], s[40:41]
	s_clause 0x1
	global_load_b64 v[16:17], v1, s[40:41]
	global_load_b64 v[18:19], v[6:7], off
	s_wait_loadcnt 0x1
	global_store_b64 v[6:7], v[16:17], off
	s_wait_loadcnt 0x0
	global_store_b64 v1, v[18:19], s[40:41]
.LBB6_42:                               ;   in Loop: Header=BB6_8 Depth=1
	s_wait_xcnt 0x0
	s_or_b32 exec_lo, exec_lo, s4
.LBB6_43:                               ;   in Loop: Header=BB6_8 Depth=1
	s_delay_alu instid0(SALU_CYCLE_1) | instskip(SKIP_2) | instid1(SALU_CYCLE_1)
	s_or_b32 exec_lo, exec_lo, s46
	v_cmp_ge_u64_e64 s4, s[36:37], v[2:3]
	s_or_b32 s5, s1, s4
	s_nor_b32 s40, s5, vcc_lo
	s_delay_alu instid0(SALU_CYCLE_1)
	s_and_saveexec_b32 s5, s40
	s_cbranch_execnz .LBB6_49
; %bb.44:                               ;   in Loop: Header=BB6_8 Depth=1
	s_or_b32 exec_lo, exec_lo, s5
	s_and_b32 s5, s2, s4
	s_delay_alu instid0(SALU_CYCLE_1)
	s_and_saveexec_b32 s4, s5
	s_cbranch_execnz .LBB6_55
.LBB6_45:                               ;   in Loop: Header=BB6_8 Depth=1
	s_or_b32 exec_lo, exec_lo, s4
	s_and_saveexec_b32 s4, s2
.LBB6_46:                               ;   in Loop: Header=BB6_8 Depth=1
	ds_store_b64 v28, v[2:3]
.LBB6_47:                               ;   in Loop: Header=BB6_8 Depth=1
	s_or_b32 exec_lo, exec_lo, s4
	v_add_nc_u64_e32 v[10:11], s[16:17], v[10:11]
	v_add_nc_u32_e32 v31, 8, v31
	s_cmp_eq_u64 s[38:39], s[6:7]
	s_cbranch_scc1 .LBB6_57
; %bb.48:                               ;   in Loop: Header=BB6_8 Depth=1
	s_mov_b64 s[36:37], s[38:39]
	s_branch .LBB6_8
.LBB6_49:                               ;   in Loop: Header=BB6_8 Depth=1
	v_add_nc_u64_e32 v[16:17], s[36:37], v[0:1]
	s_mov_b32 s40, exec_lo
	s_delay_alu instid0(VALU_DEP_1)
	v_cmpx_gt_i64_e64 s[6:7], v[16:17]
	s_cbranch_execz .LBB6_52
; %bb.50:                               ;   in Loop: Header=BB6_8 Depth=1
	v_mov_b64_e32 v[22:23], v[10:11]
	v_dual_mov_b32 v18, v15 :: v_dual_mov_b32 v19, v15
	v_dual_mov_b32 v20, v14 :: v_dual_mov_b32 v21, v14
	v_mov_b32_e32 v24, v31
	s_mov_b32 s41, 0
.LBB6_51:                               ;   Parent Loop BB6_8 Depth=1
                                        ; =>  This Inner Loop Header: Depth=2
	global_load_b64 v[34:35], v[22:23], off
	ds_load_b64 v[36:37], v24
	v_add_nc_u64_e32 v[16:17], s[10:11], v[16:17]
	v_add_nc_u32_e32 v24, s45, v24
	s_delay_alu instid0(VALU_DEP_2) | instskip(SKIP_3) | instid1(VALU_DEP_1)
	v_cmp_le_i64_e32 vcc_lo, s[6:7], v[16:17]
	s_or_b32 s41, vcc_lo, s41
	s_wait_dscnt 0x0
	v_pk_mul_f32 v[38:39], v[18:19], v[36:37] op_sel:[0,1] op_sel_hi:[1,0]
	v_pk_fma_f32 v[40:41], v[20:21], v[36:37], v[38:39]
	v_pk_fma_f32 v[36:37], v[20:21], v[36:37], v[38:39] neg_lo:[0,0,1] neg_hi:[0,0,1]
	s_delay_alu instid0(VALU_DEP_2) | instskip(SKIP_1) | instid1(VALU_DEP_1)
	v_mov_b32_e32 v37, v41
	s_wait_loadcnt 0x0
	v_pk_add_f32 v[34:35], v[34:35], v[36:37] neg_lo:[0,1] neg_hi:[0,1]
	global_store_b64 v[22:23], v[34:35], off
	s_wait_xcnt 0x0
	v_add_nc_u64_e32 v[22:23], s[24:25], v[22:23]
	s_and_not1_b32 exec_lo, exec_lo, s41
	s_cbranch_execnz .LBB6_51
.LBB6_52:                               ;   in Loop: Header=BB6_8 Depth=1
	s_or_b32 exec_lo, exec_lo, s40
	v_cmp_lt_i64_e64 s40, s[36:37], s[22:23]
	s_and_b32 s41, s2, s40
	s_delay_alu instid0(SALU_CYCLE_1)
	s_and_saveexec_b32 s40, s41
	s_cbranch_execz .LBB6_54
; %bb.53:                               ;   in Loop: Header=BB6_8 Depth=1
	s_add_nc_u64 s[46:47], s[36:37], 1
	s_lshl_b32 s36, s36, 3
	s_mul_u64 s[46:47], s[46:47], s[12:13]
	s_add_co_i32 s36, s42, s36
	v_lshl_add_u64 v[16:17], s[46:47], 3, v[4:5]
	v_mov_b32_e32 v20, s36
	global_load_b64 v[18:19], v[16:17], off
	ds_load_b64 v[20:21], v20 offset:8
	s_wait_dscnt 0x0
	v_pk_mul_f32 v[22:23], v[14:15], v[20:21] op_sel:[1,1] op_sel_hi:[1,0]
	s_delay_alu instid0(VALU_DEP_1) | instskip(SKIP_1) | instid1(VALU_DEP_2)
	v_pk_fma_f32 v[24:25], v[14:15], v[20:21], v[22:23] op_sel_hi:[0,1,1]
	v_pk_fma_f32 v[14:15], v[14:15], v[20:21], v[22:23] neg_lo:[0,0,1] neg_hi:[0,0,1]
	v_mov_b32_e32 v15, v25
	s_wait_loadcnt 0x0
	s_delay_alu instid0(VALU_DEP_1) | instskip(NEXT) | instid1(VALU_DEP_1)
	v_pk_add_f32 v[14:15], v[18:19], v[14:15] neg_lo:[0,1] neg_hi:[0,1]
	v_cmp_gt_f32_e32 vcc_lo, 0, v15
	global_store_b64 v[16:17], v[14:15], off
	v_cndmask_b32_e64 v18, v15, -v15, vcc_lo
	v_cmp_gt_f32_e32 vcc_lo, 0, v14
	v_cndmask_b32_e64 v19, v14, -v14, vcc_lo
	s_delay_alu instid0(VALU_DEP_1)
	v_add_f32_e32 v26, v19, v18
	ds_store_b64 v29, v[14:15]
	ds_store_b32 v27, v26
.LBB6_54:                               ;   in Loop: Header=BB6_8 Depth=1
	s_wait_xcnt 0x0
	s_or_b32 exec_lo, exec_lo, s40
	s_delay_alu instid0(SALU_CYCLE_1) | instskip(SKIP_1) | instid1(SALU_CYCLE_1)
	s_or_b32 exec_lo, exec_lo, s5
	s_and_b32 s5, s2, s4
	s_and_saveexec_b32 s4, s5
	s_cbranch_execz .LBB6_45
.LBB6_55:                               ;   in Loop: Header=BB6_8 Depth=1
	v_mov_b32_e32 v26, 0
	ds_store_b64 v29, v[12:13]
	ds_store_b32 v27, v1
	s_or_b32 exec_lo, exec_lo, s4
	s_and_saveexec_b32 s4, s2
	s_cbranch_execnz .LBB6_46
	s_branch .LBB6_47
.LBB6_56:
	s_mov_b64 s[8:9], 0
.LBB6_57:
	s_mov_b32 s1, 0
	s_mov_b32 s0, exec_lo
	v_cmpx_eq_u32_e32 0, v2
	s_cbranch_execz .LBB6_60
; %bb.58:
	v_mov_b32_e32 v0, s28
	v_cmp_gt_i64_e64 s0, s[8:9], 0
	s_wait_kmcnt 0x0
	global_load_b64 v[0:1], v0, s[26:27] scale_offset
	s_wait_loadcnt 0x0
	v_readfirstlane_b32 s4, v0
	v_readfirstlane_b32 s5, v1
	s_cmp_eq_u64 s[4:5], 0
	s_cselect_b32 s3, -1, 0
	s_delay_alu instid0(SALU_CYCLE_1) | instskip(NEXT) | instid1(SALU_CYCLE_1)
	s_and_b32 s0, s3, s0
	s_and_b32 s0, s2, s0
	s_wait_xcnt 0x0
	s_and_b32 exec_lo, exec_lo, s0
	s_cbranch_execz .LBB6_60
; %bb.59:
	s_add_nc_u64 s[2:3], s[8:9], s[20:21]
	v_mov_b32_e32 v2, 0
	v_mov_b64_e32 v[0:1], s[2:3]
	s_lshl_b32 s0, s28, 3
	s_delay_alu instid0(SALU_CYCLE_1)
	s_add_nc_u64 s[0:1], s[26:27], s[0:1]
	global_store_b64 v2, v[0:1], s[0:1]
.LBB6_60:
	s_endpgm
	.section	.rodata,"a",@progbits
	.p2align	6, 0x0
	.amdhsa_kernel _ZN9rocsolver6v33100L18getf2_panel_kernelI19rocblas_complex_numIfEllPS3_EEvT0_S5_T2_lS5_lPS5_llPT1_S5_S5_S7_l
		.amdhsa_group_segment_fixed_size 8
		.amdhsa_private_segment_fixed_size 0
		.amdhsa_kernarg_size 368
		.amdhsa_user_sgpr_count 2
		.amdhsa_user_sgpr_dispatch_ptr 0
		.amdhsa_user_sgpr_queue_ptr 0
		.amdhsa_user_sgpr_kernarg_segment_ptr 1
		.amdhsa_user_sgpr_dispatch_id 0
		.amdhsa_user_sgpr_kernarg_preload_length 0
		.amdhsa_user_sgpr_kernarg_preload_offset 0
		.amdhsa_user_sgpr_private_segment_size 0
		.amdhsa_wavefront_size32 1
		.amdhsa_uses_dynamic_stack 0
		.amdhsa_enable_private_segment 0
		.amdhsa_system_sgpr_workgroup_id_x 1
		.amdhsa_system_sgpr_workgroup_id_y 0
		.amdhsa_system_sgpr_workgroup_id_z 1
		.amdhsa_system_sgpr_workgroup_info 0
		.amdhsa_system_vgpr_workitem_id 1
		.amdhsa_next_free_vgpr 42
		.amdhsa_next_free_sgpr 50
		.amdhsa_named_barrier_count 0
		.amdhsa_reserve_vcc 1
		.amdhsa_float_round_mode_32 0
		.amdhsa_float_round_mode_16_64 0
		.amdhsa_float_denorm_mode_32 3
		.amdhsa_float_denorm_mode_16_64 3
		.amdhsa_fp16_overflow 0
		.amdhsa_memory_ordered 1
		.amdhsa_forward_progress 1
		.amdhsa_inst_pref_size 23
		.amdhsa_round_robin_scheduling 0
		.amdhsa_exception_fp_ieee_invalid_op 0
		.amdhsa_exception_fp_denorm_src 0
		.amdhsa_exception_fp_ieee_div_zero 0
		.amdhsa_exception_fp_ieee_overflow 0
		.amdhsa_exception_fp_ieee_underflow 0
		.amdhsa_exception_fp_ieee_inexact 0
		.amdhsa_exception_int_div_zero 0
	.end_amdhsa_kernel
	.section	.text._ZN9rocsolver6v33100L18getf2_panel_kernelI19rocblas_complex_numIfEllPS3_EEvT0_S5_T2_lS5_lPS5_llPT1_S5_S5_S7_l,"axG",@progbits,_ZN9rocsolver6v33100L18getf2_panel_kernelI19rocblas_complex_numIfEllPS3_EEvT0_S5_T2_lS5_lPS5_llPT1_S5_S5_S7_l,comdat
.Lfunc_end6:
	.size	_ZN9rocsolver6v33100L18getf2_panel_kernelI19rocblas_complex_numIfEllPS3_EEvT0_S5_T2_lS5_lPS5_llPT1_S5_S5_S7_l, .Lfunc_end6-_ZN9rocsolver6v33100L18getf2_panel_kernelI19rocblas_complex_numIfEllPS3_EEvT0_S5_T2_lS5_lPS5_llPT1_S5_S5_S7_l
                                        ; -- End function
	.set _ZN9rocsolver6v33100L18getf2_panel_kernelI19rocblas_complex_numIfEllPS3_EEvT0_S5_T2_lS5_lPS5_llPT1_S5_S5_S7_l.num_vgpr, 42
	.set _ZN9rocsolver6v33100L18getf2_panel_kernelI19rocblas_complex_numIfEllPS3_EEvT0_S5_T2_lS5_lPS5_llPT1_S5_S5_S7_l.num_agpr, 0
	.set _ZN9rocsolver6v33100L18getf2_panel_kernelI19rocblas_complex_numIfEllPS3_EEvT0_S5_T2_lS5_lPS5_llPT1_S5_S5_S7_l.numbered_sgpr, 50
	.set _ZN9rocsolver6v33100L18getf2_panel_kernelI19rocblas_complex_numIfEllPS3_EEvT0_S5_T2_lS5_lPS5_llPT1_S5_S5_S7_l.num_named_barrier, 0
	.set _ZN9rocsolver6v33100L18getf2_panel_kernelI19rocblas_complex_numIfEllPS3_EEvT0_S5_T2_lS5_lPS5_llPT1_S5_S5_S7_l.private_seg_size, 0
	.set _ZN9rocsolver6v33100L18getf2_panel_kernelI19rocblas_complex_numIfEllPS3_EEvT0_S5_T2_lS5_lPS5_llPT1_S5_S5_S7_l.uses_vcc, 1
	.set _ZN9rocsolver6v33100L18getf2_panel_kernelI19rocblas_complex_numIfEllPS3_EEvT0_S5_T2_lS5_lPS5_llPT1_S5_S5_S7_l.uses_flat_scratch, 0
	.set _ZN9rocsolver6v33100L18getf2_panel_kernelI19rocblas_complex_numIfEllPS3_EEvT0_S5_T2_lS5_lPS5_llPT1_S5_S5_S7_l.has_dyn_sized_stack, 0
	.set _ZN9rocsolver6v33100L18getf2_panel_kernelI19rocblas_complex_numIfEllPS3_EEvT0_S5_T2_lS5_lPS5_llPT1_S5_S5_S7_l.has_recursion, 0
	.set _ZN9rocsolver6v33100L18getf2_panel_kernelI19rocblas_complex_numIfEllPS3_EEvT0_S5_T2_lS5_lPS5_llPT1_S5_S5_S7_l.has_indirect_call, 0
	.section	.AMDGPU.csdata,"",@progbits
; Kernel info:
; codeLenInByte = 2832
; TotalNumSgprs: 52
; NumVgprs: 42
; ScratchSize: 0
; MemoryBound: 1
; FloatMode: 240
; IeeeMode: 1
; LDSByteSize: 8 bytes/workgroup (compile time only)
; SGPRBlocks: 0
; VGPRBlocks: 2
; NumSGPRsForWavesPerEU: 52
; NumVGPRsForWavesPerEU: 42
; NamedBarCnt: 0
; Occupancy: 16
; WaveLimiterHint : 0
; COMPUTE_PGM_RSRC2:SCRATCH_EN: 0
; COMPUTE_PGM_RSRC2:USER_SGPR: 2
; COMPUTE_PGM_RSRC2:TRAP_HANDLER: 0
; COMPUTE_PGM_RSRC2:TGID_X_EN: 1
; COMPUTE_PGM_RSRC2:TGID_Y_EN: 0
; COMPUTE_PGM_RSRC2:TGID_Z_EN: 1
; COMPUTE_PGM_RSRC2:TIDIG_COMP_CNT: 1
	.section	.text._ZN9rocsolver6v33100L23getf2_npvt_panel_kernelI19rocblas_complex_numIfEllPS3_EEvT0_S5_T2_lS5_lPT1_S5_S5_,"axG",@progbits,_ZN9rocsolver6v33100L23getf2_npvt_panel_kernelI19rocblas_complex_numIfEllPS3_EEvT0_S5_T2_lS5_lPT1_S5_S5_,comdat
	.globl	_ZN9rocsolver6v33100L23getf2_npvt_panel_kernelI19rocblas_complex_numIfEllPS3_EEvT0_S5_T2_lS5_lPT1_S5_S5_ ; -- Begin function _ZN9rocsolver6v33100L23getf2_npvt_panel_kernelI19rocblas_complex_numIfEllPS3_EEvT0_S5_T2_lS5_lPT1_S5_S5_
	.p2align	8
	.type	_ZN9rocsolver6v33100L23getf2_npvt_panel_kernelI19rocblas_complex_numIfEllPS3_EEvT0_S5_T2_lS5_lPT1_S5_S5_,@function
_ZN9rocsolver6v33100L23getf2_npvt_panel_kernelI19rocblas_complex_numIfEllPS3_EEvT0_S5_T2_lS5_lPT1_S5_S5_: ; @_ZN9rocsolver6v33100L23getf2_npvt_panel_kernelI19rocblas_complex_numIfEllPS3_EEvT0_S5_T2_lS5_lPT1_S5_S5_
; %bb.0:
	s_clause 0x2
	s_load_b256 s[4:11], s[0:1], 0x20
	s_load_b256 s[12:19], s[0:1], 0x0
	s_load_b32 s3, s[0:1], 0x54
	s_bfe_u32 s2, ttmp6, 0x40014
	s_wait_kmcnt 0x0
	s_lshr_b32 s10, ttmp7, 16
	s_add_co_i32 s2, s2, 1
	s_bfe_u32 s20, ttmp6, 0x40008
	s_mul_i32 s2, s10, s2
	s_getreg_b32 s21, hwreg(HW_REG_IB_STS2, 6, 4)
	s_add_co_i32 s20, s20, s2
	s_cmp_eq_u32 s21, 0
	s_mov_b32 s11, 0
	v_mov_b32_e32 v2, 0
	v_bfe_u32 v4, v0, 10, 10
	s_cselect_b32 s10, s10, s20
	v_and_b32_e32 v0, 0x3ff, v0
	s_delay_alu instid0(VALU_DEP_3) | instskip(NEXT) | instid1(VALU_DEP_3)
	v_mov_b32_e32 v1, v2
	v_cmp_eq_u32_e64 s2, 0, v4
	s_mul_u64 s[6:7], s[6:7], s[10:11]
	s_lshl_b64 s[22:23], s[18:19], 3
	s_lshl_b64 s[20:21], s[6:7], 3
	s_delay_alu instid0(SALU_CYCLE_1) | instskip(NEXT) | instid1(SALU_CYCLE_1)
	s_add_nc_u64 s[6:7], s[16:17], s[20:21]
	s_add_nc_u64 s[6:7], s[6:7], s[22:23]
	s_and_saveexec_b32 s11, s2
	s_cbranch_execz .LBB7_4
; %bb.1:
	v_mov_b32_e32 v3, 0
	s_mov_b32 s18, exec_lo
	v_cmpx_gt_i64_e64 s[12:13], v[0:1]
	s_cbranch_execz .LBB7_3
; %bb.2:
	global_load_b64 v[2:3], v0, s[6:7] scale_offset
.LBB7_3:
	s_wait_xcnt 0x0
	s_or_b32 exec_lo, exec_lo, s18
	v_lshl_add_u32 v5, v0, 3, 0
	s_wait_loadcnt 0x0
	ds_store_b64 v5, v[2:3]
.LBB7_4:
	s_or_b32 exec_lo, exec_lo, s11
	v_cmp_lt_i64_e64 s11, s[14:15], 1
	s_and_b32 vcc_lo, exec_lo, s11
	s_cbranch_vccnz .LBB7_30
; %bb.5:
	v_dual_mov_b32 v7, 0 :: v_dual_add_nc_u32 v2, 2, v4
	v_mul_u64_e32 v[10:11], s[4:5], v[0:1]
	s_add_nc_u64 s[20:21], s[22:23], s[20:21]
	s_and_b32 s11, s3, 0xffff
	s_delay_alu instid0(VALU_DEP_2) | instskip(SKIP_3) | instid1(VALU_DEP_3)
	v_dual_mov_b32 v3, v7 :: v_dual_lshlrev_b32 v6, 3, v0
	s_lshl_b32 s11, s11, 3
	v_lshlrev_b32_e32 v12, 3, v4
	v_cmp_gt_u64_e32 vcc_lo, s[14:15], v[0:1]
	v_mul_u64_e32 v[8:9], s[4:5], v[2:3]
	s_add_co_i32 s11, s11, 0
	s_lshr_b32 s18, s3, 16
	v_cmp_gt_i64_e64 s3, s[12:13], v[0:1]
	v_add_nc_u64_e32 v[4:5], s[6:7], v[6:7]
	v_dual_add_nc_u32 v22, 0, v6 :: v_dual_add_nc_u32 v23, s11, v6
	s_mov_b32 s19, 0
	v_add3_u32 v24, s11, v12, 16
	s_mul_u64 s[22:23], s[4:5], s[18:19]
	s_add_nc_u64 s[12:13], s[14:15], -1
	s_and_b32 s28, s2, vcc_lo
	s_lshl_b32 s29, s18, 3
	v_lshl_add_u64 v[8:9], v[8:9], 3, s[20:21]
	s_lshl_b64 s[20:21], s[4:5], 3
	s_delay_alu instid0(VALU_DEP_1) | instskip(SKIP_3) | instid1(VALU_DEP_3)
	v_add_nc_u64_e32 v[8:9], v[8:9], v[6:7]
	v_lshl_add_u64 v[6:7], v[10:11], 3, s[6:7]
	v_mov_b64_e32 v[10:11], 0
	s_mov_b64 s[6:7], 0
	v_add_nc_u64_e32 v[8:9], s[16:17], v[8:9]
	s_lshl_b64 s[16:17], s[22:23], 3
	s_mov_b64 s[22:23], 0
.LBB7_6:                                ; =>This Loop Header: Depth=1
                                        ;     Child Loop BB7_20 Depth 2
	s_delay_alu instid0(SALU_CYCLE_1)
	s_lshl_b32 s30, s22, 3
	s_wait_dscnt 0x0
	s_add_co_i32 s24, s30, 0
	s_barrier_signal -1
	v_mov_b32_e32 v12, s24
	s_barrier_wait -1
	ds_load_b64 v[12:13], v12
	s_wait_dscnt 0x0
	v_readfirstlane_b32 s26, v12
	v_readfirstlane_b32 s27, v13
	s_cmp_eq_f32 s26, 0
	s_cselect_b32 s24, -1, 0
	s_cmp_eq_f32 s27, 0
	s_cselect_b32 s25, -1, 0
	s_delay_alu instid0(SALU_CYCLE_1) | instskip(SKIP_2) | instid1(SALU_CYCLE_1)
	s_and_b32 s24, s24, s25
	s_cmp_eq_u64 s[6:7], 0
	s_cselect_b32 s25, -1, 0
	s_and_b32 s24, s24, s25
	s_delay_alu instid0(SALU_CYCLE_1)
	s_and_not1_b32 vcc_lo, exec_lo, s24
	s_cbranch_vccz .LBB7_9
; %bb.7:                                ;   in Loop: Header=BB7_6 Depth=1
	s_and_b32 s24, s26, 0x7fffffff
	s_and_b32 s25, s27, 0x7fffffff
	s_delay_alu instid0(SALU_CYCLE_1)
	s_cmp_ngt_f32 s24, s25
	s_cbranch_scc0 .LBB7_10
; %bb.8:                                ;   in Loop: Header=BB7_6 Depth=1
	v_div_scale_f32 v12, null, s27, s27, s26
	v_div_scale_f32 v15, vcc_lo, s26, s27, s26
	s_delay_alu instid0(VALU_DEP_2)
	v_rcp_f32_e32 v13, v12
	v_nop
	v_xor_b32_e32 v12, 0x80000000, v12
	s_delay_alu instid0(TRANS32_DEP_1) | instid1(VALU_DEP_1)
	v_fma_f32 v14, v12, v13, 1.0
	s_delay_alu instid0(VALU_DEP_1) | instskip(NEXT) | instid1(VALU_DEP_1)
	v_fmac_f32_e32 v13, v14, v13
	v_mul_f32_e32 v14, v15, v13
	s_delay_alu instid0(VALU_DEP_1) | instskip(NEXT) | instid1(VALU_DEP_1)
	v_fma_f32 v16, v12, v14, v15
	v_fmac_f32_e32 v14, v16, v13
	s_delay_alu instid0(VALU_DEP_1) | instskip(NEXT) | instid1(VALU_DEP_1)
	v_fmac_f32_e32 v15, v12, v14
	v_div_fmas_f32 v12, v15, v13, v14
	s_delay_alu instid0(VALU_DEP_1) | instskip(NEXT) | instid1(VALU_DEP_1)
	v_div_fixup_f32 v12, v12, s27, s26
	v_fma_f32 v13, s26, v12, s27
	s_delay_alu instid0(VALU_DEP_1) | instskip(SKIP_1) | instid1(VALU_DEP_2)
	v_div_scale_f32 v14, null, v13, v13, 1.0
	v_div_scale_f32 v17, vcc_lo, 1.0, v13, 1.0
	v_rcp_f32_e32 v15, v14
	v_nop
	v_xor_b32_e32 v14, 0x80000000, v14
	s_delay_alu instid0(TRANS32_DEP_1) | instid1(VALU_DEP_1)
	v_fma_f32 v16, v14, v15, 1.0
	s_delay_alu instid0(VALU_DEP_1) | instskip(NEXT) | instid1(VALU_DEP_1)
	v_fmac_f32_e32 v15, v16, v15
	v_mul_f32_e32 v16, v17, v15
	s_delay_alu instid0(VALU_DEP_1) | instskip(NEXT) | instid1(VALU_DEP_1)
	v_fma_f32 v18, v14, v16, v17
	v_fmac_f32_e32 v16, v18, v15
	s_delay_alu instid0(VALU_DEP_1) | instskip(NEXT) | instid1(VALU_DEP_1)
	v_fmac_f32_e32 v17, v14, v16
	v_div_fmas_f32 v14, v17, v15, v16
	s_delay_alu instid0(VALU_DEP_1) | instskip(NEXT) | instid1(VALU_DEP_1)
	v_div_fixup_f32 v13, v14, v13, 1.0
	v_mul_f32_e32 v14, v12, v13
	v_xor_b32_e32 v15, 0x80000000, v13
	s_delay_alu instid0(VALU_DEP_2) | instskip(NEXT) | instid1(VALU_DEP_2)
	v_mov_b32_e32 v12, v14
	v_mov_b64_e32 v[16:17], v[14:15]
	s_cbranch_execz .LBB7_11
	s_branch .LBB7_12
.LBB7_9:                                ;   in Loop: Header=BB7_6 Depth=1
                                        ; implicit-def: $vgpr15
                                        ; implicit-def: $vgpr12
                                        ; implicit-def: $vgpr16_vgpr17
	s_add_nc_u64 s[24:25], s[22:23], 1
	s_branch .LBB7_13
.LBB7_10:                               ;   in Loop: Header=BB7_6 Depth=1
                                        ; implicit-def: $vgpr15
                                        ; implicit-def: $vgpr12
                                        ; implicit-def: $vgpr16_vgpr17
.LBB7_11:                               ;   in Loop: Header=BB7_6 Depth=1
	v_div_scale_f32 v12, null, s26, s26, s27
	v_div_scale_f32 v15, vcc_lo, s27, s26, s27
	s_delay_alu instid0(VALU_DEP_2)
	v_rcp_f32_e32 v13, v12
	v_nop
	v_xor_b32_e32 v12, 0x80000000, v12
	s_delay_alu instid0(TRANS32_DEP_1) | instid1(VALU_DEP_1)
	v_fma_f32 v14, v12, v13, 1.0
	s_delay_alu instid0(VALU_DEP_1) | instskip(NEXT) | instid1(VALU_DEP_1)
	v_fmac_f32_e32 v13, v14, v13
	v_mul_f32_e32 v14, v15, v13
	s_delay_alu instid0(VALU_DEP_1) | instskip(NEXT) | instid1(VALU_DEP_1)
	v_fma_f32 v16, v12, v14, v15
	v_fmac_f32_e32 v14, v16, v13
	s_delay_alu instid0(VALU_DEP_1) | instskip(NEXT) | instid1(VALU_DEP_1)
	v_fmac_f32_e32 v15, v12, v14
	v_div_fmas_f32 v12, v15, v13, v14
	s_delay_alu instid0(VALU_DEP_1) | instskip(NEXT) | instid1(VALU_DEP_1)
	v_div_fixup_f32 v12, v12, s26, s27
	v_fma_f32 v13, s27, v12, s26
	s_delay_alu instid0(VALU_DEP_1) | instskip(NEXT) | instid1(VALU_DEP_1)
	v_div_scale_f32 v14, null, v13, v13, 1.0
	v_rcp_f32_e32 v15, v14
	v_nop
	v_xor_b32_e32 v14, 0x80000000, v14
	s_delay_alu instid0(TRANS32_DEP_1) | instid1(VALU_DEP_1)
	v_fma_f32 v16, v14, v15, 1.0
	s_delay_alu instid0(VALU_DEP_1) | instskip(SKIP_1) | instid1(VALU_DEP_1)
	v_fmac_f32_e32 v15, v16, v15
	v_div_scale_f32 v16, vcc_lo, 1.0, v13, 1.0
	v_mul_f32_e32 v17, v16, v15
	s_delay_alu instid0(VALU_DEP_1) | instskip(NEXT) | instid1(VALU_DEP_1)
	v_fma_f32 v18, v14, v17, v16
	v_fmac_f32_e32 v17, v18, v15
	s_delay_alu instid0(VALU_DEP_1) | instskip(NEXT) | instid1(VALU_DEP_1)
	v_fmac_f32_e32 v16, v14, v17
	v_div_fmas_f32 v14, v16, v15, v17
	s_delay_alu instid0(VALU_DEP_1) | instskip(NEXT) | instid1(VALU_DEP_1)
	v_div_fixup_f32 v14, v14, v13, 1.0
	v_xor_b32_e32 v13, 0x80000000, v14
	s_delay_alu instid0(VALU_DEP_1) | instskip(NEXT) | instid1(VALU_DEP_1)
	v_dual_mul_f32 v15, v12, v13 :: v_dual_mov_b32 v12, v14
	v_mov_b64_e32 v[16:17], v[14:15]
.LBB7_12:                               ;   in Loop: Header=BB7_6 Depth=1
	s_add_nc_u64 s[24:25], s[22:23], 1
	s_cbranch_execnz .LBB7_14
.LBB7_13:                               ;   in Loop: Header=BB7_6 Depth=1
	v_mov_b64_e32 v[16:17], s[26:27]
	v_dual_mov_b32 v12, s26 :: v_dual_mov_b32 v15, s27
	s_add_nc_u64 s[6:7], s[22:23], 1
.LBB7_14:                               ;   in Loop: Header=BB7_6 Depth=1
	s_mov_b32 s26, exec_lo
	v_cmpx_ne_u64_e64 s[22:23], v[0:1]
	s_cbranch_execnz .LBB7_27
; %bb.15:                               ;   in Loop: Header=BB7_6 Depth=1
	s_or_b32 exec_lo, exec_lo, s26
	s_and_saveexec_b32 s26, s28
	s_cbranch_execz .LBB7_17
.LBB7_16:                               ;   in Loop: Header=BB7_6 Depth=1
	v_lshl_add_u64 v[16:17], s[22:23], 3, v[6:7]
	global_load_b64 v[16:17], v[16:17], off
	s_wait_loadcnt 0x0
	ds_store_b64 v23, v[16:17]
.LBB7_17:                               ;   in Loop: Header=BB7_6 Depth=1
	s_wait_xcnt 0x0
	s_or_b32 exec_lo, exec_lo, s26
	v_cmp_lt_u64_e32 vcc_lo, s[22:23], v[0:1]
	s_wait_storecnt_dscnt 0x0
	s_barrier_signal -1
	s_barrier_wait -1
	s_and_b32 s27, s3, vcc_lo
	s_delay_alu instid0(SALU_CYCLE_1)
	s_and_saveexec_b32 s26, s27
	s_cbranch_execz .LBB7_23
; %bb.18:                               ;   in Loop: Header=BB7_6 Depth=1
	v_add_nc_u64_e32 v[16:17], s[22:23], v[2:3]
	v_mov_b32_e32 v13, v15
	s_mov_b32 s27, exec_lo
	s_delay_alu instid0(VALU_DEP_2)
	v_cmpx_gt_i64_e64 s[14:15], v[16:17]
	s_cbranch_execz .LBB7_21
; %bb.19:                               ;   in Loop: Header=BB7_6 Depth=1
	v_mov_b64_e32 v[20:21], v[8:9]
	v_dual_mov_b32 v14, v15 :: v_dual_mov_b32 v15, v13
	v_dual_mov_b32 v18, v12 :: v_dual_mov_b32 v19, v12
	v_mov_b32_e32 v25, v24
	s_mov_b32 s31, 0
.LBB7_20:                               ;   Parent Loop BB7_6 Depth=1
                                        ; =>  This Inner Loop Header: Depth=2
	global_load_b64 v[26:27], v[20:21], off
	ds_load_b64 v[28:29], v25
	v_add_nc_u64_e32 v[16:17], s[18:19], v[16:17]
	v_add_nc_u32_e32 v25, s29, v25
	s_delay_alu instid0(VALU_DEP_2) | instskip(SKIP_3) | instid1(VALU_DEP_1)
	v_cmp_le_i64_e32 vcc_lo, s[14:15], v[16:17]
	s_or_b32 s31, vcc_lo, s31
	s_wait_dscnt 0x0
	v_pk_mul_f32 v[30:31], v[14:15], v[28:29] op_sel:[0,1] op_sel_hi:[1,0]
	v_pk_fma_f32 v[32:33], v[18:19], v[28:29], v[30:31]
	v_pk_fma_f32 v[28:29], v[18:19], v[28:29], v[30:31] neg_lo:[0,0,1] neg_hi:[0,0,1]
	s_delay_alu instid0(VALU_DEP_2) | instskip(SKIP_1) | instid1(VALU_DEP_1)
	v_mov_b32_e32 v29, v33
	s_wait_loadcnt 0x0
	v_pk_add_f32 v[26:27], v[26:27], v[28:29] neg_lo:[0,1] neg_hi:[0,1]
	global_store_b64 v[20:21], v[26:27], off
	s_wait_xcnt 0x0
	v_add_nc_u64_e32 v[20:21], s[16:17], v[20:21]
	s_and_not1_b32 exec_lo, exec_lo, s31
	s_cbranch_execnz .LBB7_20
.LBB7_21:                               ;   in Loop: Header=BB7_6 Depth=1
	s_or_b32 exec_lo, exec_lo, s27
	v_cmp_lt_i64_e64 s27, s[22:23], s[12:13]
	s_and_b32 s27, s2, s27
	s_delay_alu instid0(SALU_CYCLE_1)
	s_and_b32 exec_lo, exec_lo, s27
	s_cbranch_execz .LBB7_23
; %bb.22:                               ;   in Loop: Header=BB7_6 Depth=1
	s_add_nc_u64 s[34:35], s[22:23], 1
	s_add_co_i32 s27, s11, s30
	s_mul_u64 s[34:35], s[34:35], s[4:5]
	v_mov_b32_e32 v18, s27
	v_lshl_add_u64 v[14:15], s[34:35], 3, v[4:5]
	ds_load_b64 v[18:19], v18 offset:8
	global_load_b64 v[16:17], v[14:15], off
	s_wait_dscnt 0x0
	v_pk_mul_f32 v[20:21], v[12:13], v[18:19] op_sel:[1,1] op_sel_hi:[1,0]
	s_delay_alu instid0(VALU_DEP_1) | instskip(SKIP_1) | instid1(VALU_DEP_2)
	v_pk_fma_f32 v[26:27], v[12:13], v[18:19], v[20:21] op_sel_hi:[0,1,1]
	v_pk_fma_f32 v[12:13], v[12:13], v[18:19], v[20:21] neg_lo:[0,0,1] neg_hi:[0,0,1]
	v_mov_b32_e32 v13, v27
	s_wait_loadcnt 0x0
	s_delay_alu instid0(VALU_DEP_1)
	v_pk_add_f32 v[12:13], v[16:17], v[12:13] neg_lo:[0,1] neg_hi:[0,1]
	global_store_b64 v[14:15], v[12:13], off
	ds_store_b64 v22, v[12:13]
.LBB7_23:                               ;   in Loop: Header=BB7_6 Depth=1
	s_wait_xcnt 0x0
	s_or_b32 exec_lo, exec_lo, s26
	v_cmp_ge_u64_e32 vcc_lo, s[22:23], v[0:1]
	s_and_b32 s23, s2, vcc_lo
	s_delay_alu instid0(SALU_CYCLE_1)
	s_and_saveexec_b32 s22, s23
; %bb.24:                               ;   in Loop: Header=BB7_6 Depth=1
	ds_store_b64 v22, v[10:11]
; %bb.25:                               ;   in Loop: Header=BB7_6 Depth=1
	s_or_b32 exec_lo, exec_lo, s22
	v_add_nc_u64_e32 v[8:9], s[20:21], v[8:9]
	v_add_nc_u32_e32 v24, 8, v24
	s_cmp_eq_u64 s[24:25], s[14:15]
	s_cbranch_scc1 .LBB7_31
; %bb.26:                               ;   in Loop: Header=BB7_6 Depth=1
	s_mov_b64 s[22:23], s[24:25]
	s_branch .LBB7_6
.LBB7_27:                               ;   in Loop: Header=BB7_6 Depth=1
	ds_load_b64 v[12:13], v22
	v_cmp_le_u64_e32 vcc_lo, s[22:23], v[0:1]
	s_and_b32 s27, s3, vcc_lo
	s_delay_alu instid0(SALU_CYCLE_1) | instskip(SKIP_2) | instid1(VALU_DEP_1)
	s_and_b32 s31, s2, s27
	s_wait_dscnt 0x0
	v_pk_mul_f32 v[18:19], v[16:17], v[12:13] op_sel:[1,1] op_sel_hi:[1,0]
	v_pk_fma_f32 v[14:15], v[16:17], v[12:13], v[18:19] op_sel_hi:[0,1,1]
	v_pk_fma_f32 v[12:13], v[16:17], v[12:13], v[18:19] op_sel_hi:[0,1,1] neg_lo:[0,0,1] neg_hi:[0,0,1]
	s_and_saveexec_b32 s27, s31
	s_cbranch_execz .LBB7_29
; %bb.28:                               ;   in Loop: Header=BB7_6 Depth=1
	s_mul_u64 s[34:35], s[22:23], s[4:5]
	v_mov_b32_e32 v13, v15
	v_lshl_add_u64 v[16:17], s[34:35], 3, v[4:5]
	global_store_b64 v[16:17], v[12:13], off
.LBB7_29:                               ;   in Loop: Header=BB7_6 Depth=1
	s_wait_xcnt 0x0
	s_or_b32 exec_lo, exec_lo, s27
	s_delay_alu instid0(SALU_CYCLE_1)
	s_or_b32 exec_lo, exec_lo, s26
	s_and_saveexec_b32 s26, s28
	s_cbranch_execnz .LBB7_16
	s_branch .LBB7_17
.LBB7_30:
	s_mov_b64 s[6:7], 0
.LBB7_31:
	s_mov_b32 s3, 0
	s_mov_b32 s4, exec_lo
	v_cmpx_eq_u32_e32 0, v0
	s_cbranch_execz .LBB7_34
; %bb.32:
	v_mov_b32_e32 v0, s10
	v_cmp_gt_i64_e64 s11, s[6:7], 0
	global_load_b64 v[0:1], v0, s[8:9] scale_offset
	s_wait_loadcnt 0x0
	v_readfirstlane_b32 s4, v0
	v_readfirstlane_b32 s5, v1
	s_cmp_eq_u64 s[4:5], 0
	s_cselect_b32 s4, -1, 0
	s_delay_alu instid0(SALU_CYCLE_1) | instskip(NEXT) | instid1(SALU_CYCLE_1)
	s_and_b32 s4, s4, s11
	s_and_b32 s2, s2, s4
	s_wait_xcnt 0x0
	s_and_b32 exec_lo, exec_lo, s2
	s_cbranch_execz .LBB7_34
; %bb.33:
	s_load_b64 s[0:1], s[0:1], 0x40
	v_mov_b32_e32 v2, 0
	s_lshl_b32 s2, s10, 3
	s_wait_kmcnt 0x0
	s_add_nc_u64 s[0:1], s[6:7], s[0:1]
	s_delay_alu instid0(SALU_CYCLE_1)
	v_mov_b64_e32 v[0:1], s[0:1]
	s_add_nc_u64 s[0:1], s[8:9], s[2:3]
	global_store_b64 v2, v[0:1], s[0:1]
.LBB7_34:
	s_endpgm
	.section	.rodata,"a",@progbits
	.p2align	6, 0x0
	.amdhsa_kernel _ZN9rocsolver6v33100L23getf2_npvt_panel_kernelI19rocblas_complex_numIfEllPS3_EEvT0_S5_T2_lS5_lPT1_S5_S5_
		.amdhsa_group_segment_fixed_size 0
		.amdhsa_private_segment_fixed_size 0
		.amdhsa_kernarg_size 328
		.amdhsa_user_sgpr_count 2
		.amdhsa_user_sgpr_dispatch_ptr 0
		.amdhsa_user_sgpr_queue_ptr 0
		.amdhsa_user_sgpr_kernarg_segment_ptr 1
		.amdhsa_user_sgpr_dispatch_id 0
		.amdhsa_user_sgpr_kernarg_preload_length 0
		.amdhsa_user_sgpr_kernarg_preload_offset 0
		.amdhsa_user_sgpr_private_segment_size 0
		.amdhsa_wavefront_size32 1
		.amdhsa_uses_dynamic_stack 0
		.amdhsa_enable_private_segment 0
		.amdhsa_system_sgpr_workgroup_id_x 1
		.amdhsa_system_sgpr_workgroup_id_y 0
		.amdhsa_system_sgpr_workgroup_id_z 1
		.amdhsa_system_sgpr_workgroup_info 0
		.amdhsa_system_vgpr_workitem_id 1
		.amdhsa_next_free_vgpr 34
		.amdhsa_next_free_sgpr 36
		.amdhsa_named_barrier_count 0
		.amdhsa_reserve_vcc 1
		.amdhsa_float_round_mode_32 0
		.amdhsa_float_round_mode_16_64 0
		.amdhsa_float_denorm_mode_32 3
		.amdhsa_float_denorm_mode_16_64 3
		.amdhsa_fp16_overflow 0
		.amdhsa_memory_ordered 1
		.amdhsa_forward_progress 1
		.amdhsa_inst_pref_size 14
		.amdhsa_round_robin_scheduling 0
		.amdhsa_exception_fp_ieee_invalid_op 0
		.amdhsa_exception_fp_denorm_src 0
		.amdhsa_exception_fp_ieee_div_zero 0
		.amdhsa_exception_fp_ieee_overflow 0
		.amdhsa_exception_fp_ieee_underflow 0
		.amdhsa_exception_fp_ieee_inexact 0
		.amdhsa_exception_int_div_zero 0
	.end_amdhsa_kernel
	.section	.text._ZN9rocsolver6v33100L23getf2_npvt_panel_kernelI19rocblas_complex_numIfEllPS3_EEvT0_S5_T2_lS5_lPT1_S5_S5_,"axG",@progbits,_ZN9rocsolver6v33100L23getf2_npvt_panel_kernelI19rocblas_complex_numIfEllPS3_EEvT0_S5_T2_lS5_lPT1_S5_S5_,comdat
.Lfunc_end7:
	.size	_ZN9rocsolver6v33100L23getf2_npvt_panel_kernelI19rocblas_complex_numIfEllPS3_EEvT0_S5_T2_lS5_lPT1_S5_S5_, .Lfunc_end7-_ZN9rocsolver6v33100L23getf2_npvt_panel_kernelI19rocblas_complex_numIfEllPS3_EEvT0_S5_T2_lS5_lPT1_S5_S5_
                                        ; -- End function
	.set _ZN9rocsolver6v33100L23getf2_npvt_panel_kernelI19rocblas_complex_numIfEllPS3_EEvT0_S5_T2_lS5_lPT1_S5_S5_.num_vgpr, 34
	.set _ZN9rocsolver6v33100L23getf2_npvt_panel_kernelI19rocblas_complex_numIfEllPS3_EEvT0_S5_T2_lS5_lPT1_S5_S5_.num_agpr, 0
	.set _ZN9rocsolver6v33100L23getf2_npvt_panel_kernelI19rocblas_complex_numIfEllPS3_EEvT0_S5_T2_lS5_lPT1_S5_S5_.numbered_sgpr, 36
	.set _ZN9rocsolver6v33100L23getf2_npvt_panel_kernelI19rocblas_complex_numIfEllPS3_EEvT0_S5_T2_lS5_lPT1_S5_S5_.num_named_barrier, 0
	.set _ZN9rocsolver6v33100L23getf2_npvt_panel_kernelI19rocblas_complex_numIfEllPS3_EEvT0_S5_T2_lS5_lPT1_S5_S5_.private_seg_size, 0
	.set _ZN9rocsolver6v33100L23getf2_npvt_panel_kernelI19rocblas_complex_numIfEllPS3_EEvT0_S5_T2_lS5_lPT1_S5_S5_.uses_vcc, 1
	.set _ZN9rocsolver6v33100L23getf2_npvt_panel_kernelI19rocblas_complex_numIfEllPS3_EEvT0_S5_T2_lS5_lPT1_S5_S5_.uses_flat_scratch, 0
	.set _ZN9rocsolver6v33100L23getf2_npvt_panel_kernelI19rocblas_complex_numIfEllPS3_EEvT0_S5_T2_lS5_lPT1_S5_S5_.has_dyn_sized_stack, 0
	.set _ZN9rocsolver6v33100L23getf2_npvt_panel_kernelI19rocblas_complex_numIfEllPS3_EEvT0_S5_T2_lS5_lPT1_S5_S5_.has_recursion, 0
	.set _ZN9rocsolver6v33100L23getf2_npvt_panel_kernelI19rocblas_complex_numIfEllPS3_EEvT0_S5_T2_lS5_lPT1_S5_S5_.has_indirect_call, 0
	.section	.AMDGPU.csdata,"",@progbits
; Kernel info:
; codeLenInByte = 1764
; TotalNumSgprs: 38
; NumVgprs: 34
; ScratchSize: 0
; MemoryBound: 0
; FloatMode: 240
; IeeeMode: 1
; LDSByteSize: 0 bytes/workgroup (compile time only)
; SGPRBlocks: 0
; VGPRBlocks: 2
; NumSGPRsForWavesPerEU: 38
; NumVGPRsForWavesPerEU: 34
; NamedBarCnt: 0
; Occupancy: 16
; WaveLimiterHint : 0
; COMPUTE_PGM_RSRC2:SCRATCH_EN: 0
; COMPUTE_PGM_RSRC2:USER_SGPR: 2
; COMPUTE_PGM_RSRC2:TRAP_HANDLER: 0
; COMPUTE_PGM_RSRC2:TGID_X_EN: 1
; COMPUTE_PGM_RSRC2:TGID_Y_EN: 0
; COMPUTE_PGM_RSRC2:TGID_Z_EN: 1
; COMPUTE_PGM_RSRC2:TIDIG_COMP_CNT: 1
	.section	.text._ZN9rocsolver6v33100L18getf2_panel_kernelI19rocblas_complex_numIfEllPKPS3_EEvT0_S7_T2_lS7_lPS7_llPT1_S7_S7_S9_l,"axG",@progbits,_ZN9rocsolver6v33100L18getf2_panel_kernelI19rocblas_complex_numIfEllPKPS3_EEvT0_S7_T2_lS7_lPS7_llPT1_S7_S7_S9_l,comdat
	.globl	_ZN9rocsolver6v33100L18getf2_panel_kernelI19rocblas_complex_numIfEllPKPS3_EEvT0_S7_T2_lS7_lPS7_llPT1_S7_S7_S9_l ; -- Begin function _ZN9rocsolver6v33100L18getf2_panel_kernelI19rocblas_complex_numIfEllPKPS3_EEvT0_S7_T2_lS7_lPS7_llPT1_S7_S7_S9_l
	.p2align	8
	.type	_ZN9rocsolver6v33100L18getf2_panel_kernelI19rocblas_complex_numIfEllPKPS3_EEvT0_S7_T2_lS7_lPS7_llPT1_S7_S7_S9_l,@function
_ZN9rocsolver6v33100L18getf2_panel_kernelI19rocblas_complex_numIfEllPKPS3_EEvT0_S7_T2_lS7_lPS7_llPT1_S7_S7_S9_l: ; @_ZN9rocsolver6v33100L18getf2_panel_kernelI19rocblas_complex_numIfEllPKPS3_EEvT0_S7_T2_lS7_lPS7_llPT1_S7_S7_S9_l
; %bb.0:
	s_load_b256 s[4:11], s[0:1], 0x0
	s_bfe_u32 s2, ttmp6, 0x40014
	s_lshr_b32 s3, ttmp7, 16
	s_add_co_i32 s2, s2, 1
	s_clause 0x1
	s_load_b128 s[16:19], s[0:1], 0x58
	s_load_b64 s[22:23], s[0:1], 0x20
	s_mul_i32 s2, s3, s2
	s_bfe_u32 s12, ttmp6, 0x40008
	s_getreg_b32 s13, hwreg(HW_REG_IB_STS2, 6, 4)
	s_add_co_i32 s12, s12, s2
	s_cmp_eq_u32 s13, 0
	s_mov_b32 s21, 0
	s_cselect_b32 s20, s3, s12
	s_mov_b64 s[24:25], 0
	s_clause 0x1
	s_load_b64 s[2:3], s[0:1], 0x68
	s_load_b32 s26, s[0:1], 0x7c
	s_wait_kmcnt 0x0
	s_load_b64 s[36:37], s[8:9], s20 offset:0x0 scale_offset
	s_cmp_eq_u64 s[18:19], 0
	s_cselect_b32 s33, -1, 0
	s_delay_alu instid0(SALU_CYCLE_1)
	s_and_b32 vcc_lo, exec_lo, s33
	s_cbranch_vccnz .LBB8_2
; %bb.1:
	s_mul_u64 s[2:3], s[2:3], s[20:21]
	s_delay_alu instid0(SALU_CYCLE_1) | instskip(NEXT) | instid1(SALU_CYCLE_1)
	s_lshl_b64 s[2:3], s[2:3], 3
	s_add_nc_u64 s[24:25], s[18:19], s[2:3]
.LBB8_2:
	s_and_b32 s3, s26, 0xffff
	v_bfe_u32 v4, v0, 10, 10
	s_lshl_b32 s2, s3, 3
	v_and_b32_e32 v2, 0x3ff, v0
	s_add_co_i32 s42, s2, 8
	s_lshl_b32 s2, s6, 3
	v_mov_b32_e32 v3, 0
	s_add_co_i32 s43, s42, s2
	v_cmp_eq_u32_e64 s2, 0, v4
	s_lshl_b64 s[28:29], s[10:11], 3
	s_wait_xcnt 0x0
	s_lshl_b32 s8, s3, 2
	s_wait_kmcnt 0x0
	s_add_nc_u64 s[38:39], s[36:37], s[28:29]
	s_add_co_i32 s40, s43, s8
                                        ; implicit-def: $vgpr24
	s_and_saveexec_b32 s8, s2
	s_cbranch_execz .LBB8_6
; %bb.3:
	v_dual_mov_b32 v0, v3 :: v_dual_mov_b32 v1, v3
	s_mov_b32 s9, exec_lo
	v_cmpx_gt_i64_e64 s[4:5], v[2:3]
	s_cbranch_execz .LBB8_5
; %bb.4:
	flat_load_b64 v[0:1], v2, s[38:39] scale_offset
.LBB8_5:
	s_wait_xcnt 0x0
	s_or_b32 exec_lo, exec_lo, s9
	s_wait_loadcnt_dscnt 0x0
	v_cmp_gt_f32_e32 vcc_lo, 0, v1
	v_dual_lshlrev_b32 v5, 3, v2 :: v_dual_cndmask_b32 v6, v1, -v1, vcc_lo
	v_cmp_gt_f32_e32 vcc_lo, 0, v0
	s_delay_alu instid0(VALU_DEP_2) | instskip(SKIP_1) | instid1(VALU_DEP_1)
	v_dual_add_nc_u32 v8, 8, v5 :: v_dual_add_nc_u32 v5, s40, v5
	v_cndmask_b32_e64 v7, v0, -v0, vcc_lo
	v_add_f32_e32 v24, v7, v6
	v_lshl_add_u32 v6, v2, 2, s43
	ds_store_b64 v8, v[0:1]
	ds_store_b32 v6, v24
	ds_store_b64 v5, v[2:3]
.LBB8_6:
	s_or_b32 exec_lo, exec_lo, s8
	s_load_b256 s[8:15], s[0:1], 0x30
	s_wait_xcnt 0x0
	v_cmp_lt_i64_e64 s0, s[6:7], 1
	s_and_b32 vcc_lo, exec_lo, s0
	s_cbranch_vccnz .LBB8_54
; %bb.7:
	v_dual_mov_b32 v1, 0 :: v_dual_add_nc_u32 v0, 2, v4
	v_mul_u64_e32 v[10:11], s[22:23], v[2:3]
	v_dual_lshlrev_b32 v8, 3, v2 :: v_dual_bitop2_b32 v5, v2, v4 bitop3:0x54
	s_wait_kmcnt 0x0
	s_mul_u64 s[30:31], s[12:13], s[20:21]
	v_mul_u64_e32 v[6:7], s[22:23], v[0:1]
	s_lshr_b32 s18, s26, 16
	s_lshl_b64 s[34:35], s[10:11], 3
	s_lshr_b32 s10, s3, 1
	v_cmp_gt_i64_e64 s0, s[4:5], v[2:3]
	v_cmp_le_i64_e64 s1, s[4:5], v[2:3]
	s_lshl_b64 s[4:5], s[30:31], 3
	v_dual_mov_b32 v9, v1 :: v_dual_lshlrev_b32 v14, 3, v4
	s_cmp_gt_u32 s3, 1
	v_cmp_eq_u32_e64 s3, 0, v5
	v_cmp_gt_u64_e32 vcc_lo, s[6:7], v[2:3]
	v_dual_add_nc_u32 v26, s40, v8 :: v_dual_add_nc_u32 v27, 8, v8
	v_dual_add_nc_u32 v28, s42, v8 :: v_dual_mov_b32 v30, s40
	s_mov_b32 s19, 0
	v_lshl_add_u32 v25, v2, 2, s43
	v_add3_u32 v29, s42, v14, 16
	s_mul_u64 s[30:31], s[22:23], s[18:19]
	s_add_nc_u64 s[4:5], s[8:9], s[4:5]
	s_add_nc_u64 s[12:13], s[16:17], 1
	s_add_nc_u64 s[26:27], s[6:7], -1
	s_mov_b32 s11, s19
	s_cselect_b32 s21, -1, 0
	s_lshl_b64 s[30:31], s[30:31], 3
	s_add_nc_u64 s[34:35], s[4:5], s[34:35]
	s_and_b32 s44, s2, vcc_lo
	s_lshl_b32 s45, s18, 3
	s_mov_b64 s[8:9], 0
	v_lshl_add_u64 v[4:5], v[6:7], 3, s[28:29]
	v_add_nc_u64_e32 v[6:7], s[24:25], v[8:9]
	s_lshl_b64 s[28:29], s[22:23], 3
	s_delay_alu instid0(VALU_DEP_2) | instskip(SKIP_2) | instid1(VALU_DEP_3)
	v_add_nc_u64_e32 v[12:13], v[4:5], v[8:9]
	v_add_nc_u64_e32 v[4:5], s[38:39], v[8:9]
	v_lshl_add_u64 v[8:9], v[10:11], 3, s[38:39]
	v_add_nc_u64_e32 v[10:11], s[36:37], v[12:13]
	v_mov_b64_e32 v[12:13], 0
	s_mov_b64 s[36:37], 0
.LBB8_8:                                ; =>This Loop Header: Depth=1
                                        ;     Child Loop BB8_14 Depth 2
                                        ;     Child Loop BB8_49 Depth 2
	v_mov_b64_e32 v[14:15], v[2:3]
	s_and_not1_b32 vcc_lo, exec_lo, s21
	s_mov_b64 s[38:39], s[10:11]
	s_wait_dscnt 0x0
	s_barrier_signal -1
	s_barrier_wait -1
	s_cbranch_vccz .LBB8_14
.LBB8_9:                                ;   in Loop: Header=BB8_8 Depth=1
	ds_load_b64 v[14:15], v30
	s_wait_dscnt 0x0
	v_lshlrev_b32_e32 v16, 3, v14
	v_readfirstlane_b32 s40, v14
	v_readfirstlane_b32 s41, v15
	s_delay_alu instid0(VALU_DEP_3)
	v_add_nc_u32_e32 v16, 8, v16
	ds_load_b64 v[16:17], v16
	s_wait_dscnt 0x0
	v_readfirstlane_b32 s4, v16
	v_readfirstlane_b32 s5, v17
	s_cmp_eq_f32 s4, 0
	s_cselect_b32 s38, -1, 0
	s_cmp_eq_f32 s5, 0
	s_cselect_b32 s39, -1, 0
	s_delay_alu instid0(SALU_CYCLE_1) | instskip(NEXT) | instid1(SALU_CYCLE_1)
	s_and_b32 s38, s38, s39
	s_and_not1_b32 vcc_lo, exec_lo, s38
	s_cbranch_vccz .LBB8_19
; %bb.10:                               ;   in Loop: Header=BB8_8 Depth=1
	s_and_b32 s38, s4, 0x7fffffff
	s_and_b32 s39, s5, 0x7fffffff
	s_delay_alu instid0(SALU_CYCLE_1)
	s_cmp_ngt_f32 s38, s39
	s_cbranch_scc0 .LBB8_20
; %bb.11:                               ;   in Loop: Header=BB8_8 Depth=1
	v_div_scale_f32 v14, null, s5, s5, s4
	v_div_scale_f32 v17, vcc_lo, s4, s5, s4
	s_delay_alu instid0(VALU_DEP_2)
	v_rcp_f32_e32 v15, v14
	v_nop
	v_xor_b32_e32 v14, 0x80000000, v14
	s_delay_alu instid0(TRANS32_DEP_1) | instid1(VALU_DEP_1)
	v_fma_f32 v16, v14, v15, 1.0
	s_delay_alu instid0(VALU_DEP_1) | instskip(NEXT) | instid1(VALU_DEP_1)
	v_fmac_f32_e32 v15, v16, v15
	v_mul_f32_e32 v16, v17, v15
	s_delay_alu instid0(VALU_DEP_1) | instskip(NEXT) | instid1(VALU_DEP_1)
	v_fma_f32 v18, v14, v16, v17
	v_fmac_f32_e32 v16, v18, v15
	s_delay_alu instid0(VALU_DEP_1) | instskip(NEXT) | instid1(VALU_DEP_1)
	v_fmac_f32_e32 v17, v14, v16
	v_div_fmas_f32 v14, v17, v15, v16
	s_delay_alu instid0(VALU_DEP_1) | instskip(NEXT) | instid1(VALU_DEP_1)
	v_div_fixup_f32 v14, v14, s5, s4
	v_fma_f32 v15, s4, v14, s5
	s_delay_alu instid0(VALU_DEP_1) | instskip(SKIP_1) | instid1(VALU_DEP_2)
	v_div_scale_f32 v16, null, v15, v15, 1.0
	v_div_scale_f32 v19, vcc_lo, 1.0, v15, 1.0
	v_rcp_f32_e32 v17, v16
	v_nop
	v_xor_b32_e32 v16, 0x80000000, v16
	s_delay_alu instid0(TRANS32_DEP_1) | instid1(VALU_DEP_1)
	v_fma_f32 v18, v16, v17, 1.0
	s_delay_alu instid0(VALU_DEP_1) | instskip(NEXT) | instid1(VALU_DEP_1)
	v_fmac_f32_e32 v17, v18, v17
	v_mul_f32_e32 v18, v19, v17
	s_delay_alu instid0(VALU_DEP_1) | instskip(NEXT) | instid1(VALU_DEP_1)
	v_fma_f32 v20, v16, v18, v19
	v_fmac_f32_e32 v18, v20, v17
	s_delay_alu instid0(VALU_DEP_1) | instskip(NEXT) | instid1(VALU_DEP_1)
	v_fmac_f32_e32 v19, v16, v18
	v_div_fmas_f32 v16, v19, v17, v18
	s_delay_alu instid0(VALU_DEP_1) | instskip(NEXT) | instid1(VALU_DEP_1)
	v_div_fixup_f32 v15, v16, v15, 1.0
	v_mul_f32_e32 v14, v14, v15
	v_xor_b32_e32 v15, 0x80000000, v15
	s_delay_alu instid0(VALU_DEP_1)
	v_mov_b64_e32 v[16:17], v[14:15]
	s_cbranch_execz .LBB8_21
	s_branch .LBB8_22
.LBB8_12:                               ;   in Loop: Header=BB8_14 Depth=2
	s_or_b32 exec_lo, exec_lo, s4
.LBB8_13:                               ;   in Loop: Header=BB8_14 Depth=2
	s_delay_alu instid0(SALU_CYCLE_1)
	s_or_b32 exec_lo, exec_lo, s5
	v_cmp_lt_u64_e64 s4, s[38:39], 2
	s_lshr_b64 s[38:39], s[38:39], 1
	s_wait_dscnt 0x0
	s_barrier_signal -1
	s_barrier_wait -1
	s_and_b32 vcc_lo, exec_lo, s4
	s_cbranch_vccnz .LBB8_9
.LBB8_14:                               ;   Parent Loop BB8_8 Depth=1
                                        ; =>  This Inner Loop Header: Depth=2
	v_cmp_gt_u64_e32 vcc_lo, s[38:39], v[2:3]
	s_and_b32 s4, s2, vcc_lo
	s_delay_alu instid0(SALU_CYCLE_1)
	s_and_saveexec_b32 s5, s4
	s_cbranch_execz .LBB8_13
; %bb.15:                               ;   in Loop: Header=BB8_14 Depth=2
	v_lshl_add_u32 v16, s38, 2, v25
	s_mov_b32 s41, exec_lo
	ds_load_b32 v18, v16
	v_lshl_add_u32 v16, s38, 3, v26
	ds_load_b64 v[16:17], v16
	s_wait_dscnt 0x1
	v_cmp_lt_f32_e64 s40, v24, v18
	v_cmpx_nlt_f32_e32 v24, v18
	s_cbranch_execz .LBB8_17
; %bb.16:                               ;   in Loop: Header=BB8_14 Depth=2
	s_wait_dscnt 0x0
	v_cmp_gt_i64_e32 vcc_lo, v[14:15], v[16:17]
	v_cmp_eq_f32_e64 s4, v24, v18
	s_and_not1_b32 s40, s40, exec_lo
	s_and_b32 s4, s4, vcc_lo
	s_delay_alu instid0(SALU_CYCLE_1) | instskip(NEXT) | instid1(SALU_CYCLE_1)
	s_and_b32 s4, s4, exec_lo
	s_or_b32 s40, s40, s4
.LBB8_17:                               ;   in Loop: Header=BB8_14 Depth=2
	s_or_b32 exec_lo, exec_lo, s41
	s_and_saveexec_b32 s4, s40
	s_cbranch_execz .LBB8_12
; %bb.18:                               ;   in Loop: Header=BB8_14 Depth=2
	s_wait_dscnt 0x0
	v_mov_b64_e32 v[14:15], v[16:17]
	v_mov_b32_e32 v24, v18
	ds_store_b32 v25, v18
	ds_store_b64 v26, v[16:17]
	s_branch .LBB8_12
.LBB8_19:                               ;   in Loop: Header=BB8_8 Depth=1
                                        ; implicit-def: $vgpr15
                                        ; implicit-def: $vgpr16_vgpr17
	s_add_nc_u64 s[38:39], s[36:37], 1
	s_branch .LBB8_23
.LBB8_20:                               ;   in Loop: Header=BB8_8 Depth=1
                                        ; implicit-def: $vgpr15
                                        ; implicit-def: $vgpr16_vgpr17
.LBB8_21:                               ;   in Loop: Header=BB8_8 Depth=1
	v_div_scale_f32 v14, null, s4, s4, s5
	v_div_scale_f32 v17, vcc_lo, s5, s4, s5
	s_delay_alu instid0(VALU_DEP_2)
	v_rcp_f32_e32 v15, v14
	v_nop
	v_xor_b32_e32 v14, 0x80000000, v14
	s_delay_alu instid0(TRANS32_DEP_1) | instid1(VALU_DEP_1)
	v_fma_f32 v16, v14, v15, 1.0
	s_delay_alu instid0(VALU_DEP_1) | instskip(NEXT) | instid1(VALU_DEP_1)
	v_fmac_f32_e32 v15, v16, v15
	v_mul_f32_e32 v16, v17, v15
	s_delay_alu instid0(VALU_DEP_1) | instskip(NEXT) | instid1(VALU_DEP_1)
	v_fma_f32 v18, v14, v16, v17
	v_fmac_f32_e32 v16, v18, v15
	s_delay_alu instid0(VALU_DEP_1) | instskip(NEXT) | instid1(VALU_DEP_1)
	v_fmac_f32_e32 v17, v14, v16
	v_div_fmas_f32 v14, v17, v15, v16
	s_delay_alu instid0(VALU_DEP_1) | instskip(NEXT) | instid1(VALU_DEP_1)
	v_div_fixup_f32 v15, v14, s4, s5
	v_fma_f32 v14, s5, v15, s4
	s_delay_alu instid0(VALU_DEP_1) | instskip(NEXT) | instid1(VALU_DEP_1)
	v_div_scale_f32 v16, null, v14, v14, 1.0
	v_rcp_f32_e32 v17, v16
	v_nop
	v_xor_b32_e32 v16, 0x80000000, v16
	s_delay_alu instid0(TRANS32_DEP_1) | instid1(VALU_DEP_1)
	v_fma_f32 v18, v16, v17, 1.0
	s_delay_alu instid0(VALU_DEP_1) | instskip(SKIP_1) | instid1(VALU_DEP_1)
	v_fmac_f32_e32 v17, v18, v17
	v_div_scale_f32 v18, vcc_lo, 1.0, v14, 1.0
	v_mul_f32_e32 v19, v18, v17
	s_delay_alu instid0(VALU_DEP_1) | instskip(NEXT) | instid1(VALU_DEP_1)
	v_fma_f32 v20, v16, v19, v18
	v_fmac_f32_e32 v19, v20, v17
	s_delay_alu instid0(VALU_DEP_1) | instskip(NEXT) | instid1(VALU_DEP_1)
	v_fmac_f32_e32 v18, v16, v19
	v_div_fmas_f32 v16, v18, v17, v19
	s_delay_alu instid0(VALU_DEP_1) | instskip(NEXT) | instid1(VALU_DEP_1)
	v_div_fixup_f32 v14, v16, v14, 1.0
	v_xor_b32_e32 v16, 0x80000000, v14
	s_delay_alu instid0(VALU_DEP_1) | instskip(NEXT) | instid1(VALU_DEP_1)
	v_mul_f32_e32 v15, v15, v16
	v_mov_b64_e32 v[16:17], v[14:15]
.LBB8_22:                               ;   in Loop: Header=BB8_8 Depth=1
	s_add_nc_u64 s[38:39], s[36:37], 1
	s_cbranch_execnz .LBB8_24
.LBB8_23:                               ;   in Loop: Header=BB8_8 Depth=1
	v_mov_b64_e32 v[16:17], s[4:5]
	v_dual_mov_b32 v14, s4 :: v_dual_mov_b32 v15, s5
	s_add_nc_u64 s[40:41], s[36:37], 1
	s_cmp_eq_u64 s[8:9], 0
	s_cselect_b32 s9, s41, s9
	s_cselect_b32 s8, s40, s8
	s_mov_b64 s[40:41], s[36:37]
.LBB8_24:                               ;   in Loop: Header=BB8_8 Depth=1
	s_and_saveexec_b32 s4, s3
	s_cbranch_execz .LBB8_26
; %bb.25:                               ;   in Loop: Header=BB8_8 Depth=1
	s_add_nc_u64 s[46:47], s[12:13], s[40:41]
	s_delay_alu instid0(SALU_CYCLE_1) | instskip(SKIP_1) | instid1(SALU_CYCLE_1)
	v_mov_b64_e32 v[18:19], s[46:47]
	s_lshl_b64 s[46:47], s[36:37], 3
	s_add_nc_u64 s[46:47], s[34:35], s[46:47]
	global_store_b64 v1, v[18:19], s[46:47]
.LBB8_26:                               ;   in Loop: Header=BB8_8 Depth=1
	s_wait_xcnt 0x0
	s_or_b32 exec_lo, exec_lo, s4
	s_delay_alu instid0(SALU_CYCLE_1)
	s_mov_b32 s5, exec_lo
	v_cmp_eq_u64_e32 vcc_lo, s[40:41], v[2:3]
	v_cmpx_ne_u64_e64 s[40:41], v[2:3]
	s_cbranch_execz .LBB8_30
; %bb.27:                               ;   in Loop: Header=BB8_8 Depth=1
	ds_load_b64 v[18:19], v27
	v_cmp_le_u64_e64 s4, s[36:37], v[2:3]
	s_and_b32 s4, s0, s4
	s_delay_alu instid0(SALU_CYCLE_1) | instskip(SKIP_2) | instid1(VALU_DEP_1)
	s_and_b32 s46, s2, s4
	s_wait_dscnt 0x0
	v_pk_mul_f32 v[20:21], v[16:17], v[18:19] op_sel:[1,1] op_sel_hi:[1,0]
	v_pk_fma_f32 v[14:15], v[16:17], v[18:19], v[20:21] op_sel_hi:[0,1,1] neg_lo:[0,0,1] neg_hi:[0,0,1]
	v_pk_fma_f32 v[16:17], v[16:17], v[18:19], v[20:21] op_sel_hi:[0,1,1]
	s_and_saveexec_b32 s4, s46
	s_cbranch_execz .LBB8_29
; %bb.28:                               ;   in Loop: Header=BB8_8 Depth=1
	s_mul_u64 s[46:47], s[36:37], s[22:23]
	s_delay_alu instid0(VALU_DEP_1)
	v_mov_b32_e32 v15, v17
	v_lshl_add_u64 v[18:19], s[46:47], 3, v[4:5]
	flat_store_b64 v[18:19], v[14:15]
.LBB8_29:                               ;   in Loop: Header=BB8_8 Depth=1
	s_wait_xcnt 0x0
	s_or_b32 exec_lo, exec_lo, s4
	v_mov_b32_e32 v15, v17
.LBB8_30:                               ;   in Loop: Header=BB8_8 Depth=1
	s_or_b32 exec_lo, exec_lo, s5
	v_lshl_add_u64 v[16:17], s[40:41], 3, v[8:9]
	s_and_saveexec_b32 s5, s44
	s_cbranch_execz .LBB8_33
; %bb.31:                               ;   in Loop: Header=BB8_8 Depth=1
	flat_load_b64 v[18:19], v[16:17]
	v_cmp_eq_u64_e64 s4, s[36:37], v[2:3]
	s_wait_loadcnt_dscnt 0x0
	ds_store_b64 v28, v[18:19]
	s_wait_xcnt 0x0
	s_and_b32 exec_lo, exec_lo, s4
; %bb.32:                               ;   in Loop: Header=BB8_8 Depth=1
	ds_store_b64 v1, v[14:15]
.LBB8_33:                               ;   in Loop: Header=BB8_8 Depth=1
	s_or_b32 exec_lo, exec_lo, s5
	s_cmp_lg_u64 s[40:41], s[36:37]
	s_wait_storecnt_dscnt 0x0
	s_cselect_b32 s4, -1, 0
	s_barrier_signal -1
	s_and_b32 s4, s44, s4
	s_barrier_wait -1
	s_and_saveexec_b32 s46, s4
	s_cbranch_execz .LBB8_41
; %bb.34:                               ;   in Loop: Header=BB8_8 Depth=1
	s_mov_b64 s[4:5], src_shared_base
	v_cmp_ne_u64_e64 s4, s[36:37], v[2:3]
	v_lshl_add_u64 v[18:19], s[36:37], 3, v[8:9]
	s_mov_b32 s47, exec_lo
	s_delay_alu instid0(VALU_DEP_1) | instskip(NEXT) | instid1(VALU_DEP_1)
	v_dual_mov_b32 v22, 0 :: v_dual_cndmask_b32 v21, s5, v19, s4
	v_dual_cndmask_b32 v20, 0, v18, s4 :: v_dual_mov_b32 v23, v22
	flat_load_b64 v[20:21], v[20:21]
	s_wait_xcnt 0x0
	v_cmpx_lt_u64_e64 s[36:37], v[2:3]
	s_cbranch_execz .LBB8_36
; %bb.35:                               ;   in Loop: Header=BB8_8 Depth=1
	ds_load_b64 v[22:23], v1
	ds_load_b64 v[32:33], v28
	s_wait_dscnt 0x0
	v_pk_mul_f32 v[34:35], v[32:33], v[22:23] op_sel:[1,1] op_sel_hi:[0,1]
	v_pk_mul_f32 v[36:37], v[32:33], v[22:23] op_sel_hi:[1,0]
	s_delay_alu instid0(VALU_DEP_2) | instskip(NEXT) | instid1(VALU_DEP_2)
	v_pk_fma_f32 v[22:23], v[32:33], v[22:23], v[34:35] op_sel_hi:[1,0,1]
	v_sub_f32_e32 v22, v36, v34
.LBB8_36:                               ;   in Loop: Header=BB8_8 Depth=1
	s_or_b32 exec_lo, exec_lo, s47
	s_wait_loadcnt_dscnt 0x0
	s_delay_alu instid0(VALU_DEP_1)
	v_pk_add_f32 v[20:21], v[20:21], v[22:23] neg_lo:[0,1] neg_hi:[0,1]
	s_add_nc_u64 s[48:49], s[36:37], 1
	s_mov_b32 s47, exec_lo
	flat_store_b64 v[16:17], v[20:21]
	s_wait_xcnt 0x0
	ds_load_b64 v[16:17], v28
	s_wait_dscnt 0x0
	flat_store_b64 v[18:19], v[16:17]
	s_wait_xcnt 0x0
	v_cmpx_eq_u64_e64 s[48:49], v[2:3]
	s_cbranch_execz .LBB8_38
; %bb.37:                               ;   in Loop: Header=BB8_8 Depth=1
	v_cmp_gt_f32_e64 s5, 0, v20
	s_lshl_b32 s48, s40, 3
	v_cndmask_b32_e64 v16, v20, -v20, s5
	v_cmp_gt_f32_e64 s5, 0, v21
	s_delay_alu instid0(VALU_DEP_1) | instskip(SKIP_4) | instid1(SALU_CYCLE_1)
	v_cndmask_b32_e64 v17, v21, -v21, s5
	s_add_co_i32 s5, s48, 8
	s_lshl_b32 s48, s40, 2
	v_mov_b32_e32 v18, s5
	s_add_co_i32 s5, s43, s48
	v_dual_add_f32 v24, v17, v16 :: v_dual_mov_b32 v16, s5
	ds_store_b64 v18, v[20:21]
	ds_store_b32 v16, v24
.LBB8_38:                               ;   in Loop: Header=BB8_8 Depth=1
	s_or_b32 exec_lo, exec_lo, s47
	s_nor_b32 s5, s33, s4
	s_delay_alu instid0(SALU_CYCLE_1)
	s_and_saveexec_b32 s4, s5
	s_cbranch_execz .LBB8_40
; %bb.39:                               ;   in Loop: Header=BB8_8 Depth=1
	s_lshl_b64 s[40:41], s[40:41], 3
	s_delay_alu instid0(SALU_CYCLE_1)
	s_add_nc_u64 s[40:41], s[24:25], s[40:41]
	s_clause 0x1
	global_load_b64 v[16:17], v1, s[40:41]
	global_load_b64 v[18:19], v[6:7], off
	s_wait_loadcnt 0x1
	global_store_b64 v[6:7], v[16:17], off
	s_wait_loadcnt 0x0
	global_store_b64 v1, v[18:19], s[40:41]
.LBB8_40:                               ;   in Loop: Header=BB8_8 Depth=1
	s_wait_xcnt 0x0
	s_or_b32 exec_lo, exec_lo, s4
.LBB8_41:                               ;   in Loop: Header=BB8_8 Depth=1
	s_delay_alu instid0(SALU_CYCLE_1) | instskip(SKIP_2) | instid1(SALU_CYCLE_1)
	s_or_b32 exec_lo, exec_lo, s46
	v_cmp_ge_u64_e64 s4, s[36:37], v[2:3]
	s_or_b32 s5, s1, s4
	s_nor_b32 s40, s5, vcc_lo
	s_delay_alu instid0(SALU_CYCLE_1)
	s_and_saveexec_b32 s5, s40
	s_cbranch_execnz .LBB8_47
; %bb.42:                               ;   in Loop: Header=BB8_8 Depth=1
	s_or_b32 exec_lo, exec_lo, s5
	s_and_b32 s5, s2, s4
	s_delay_alu instid0(SALU_CYCLE_1)
	s_and_saveexec_b32 s4, s5
	s_cbranch_execnz .LBB8_53
.LBB8_43:                               ;   in Loop: Header=BB8_8 Depth=1
	s_or_b32 exec_lo, exec_lo, s4
	s_and_saveexec_b32 s4, s2
.LBB8_44:                               ;   in Loop: Header=BB8_8 Depth=1
	ds_store_b64 v26, v[2:3]
.LBB8_45:                               ;   in Loop: Header=BB8_8 Depth=1
	s_or_b32 exec_lo, exec_lo, s4
	v_add_nc_u64_e32 v[10:11], s[28:29], v[10:11]
	v_add_nc_u32_e32 v29, 8, v29
	s_cmp_eq_u64 s[38:39], s[6:7]
	s_cbranch_scc1 .LBB8_55
; %bb.46:                               ;   in Loop: Header=BB8_8 Depth=1
	s_mov_b64 s[36:37], s[38:39]
	s_branch .LBB8_8
.LBB8_47:                               ;   in Loop: Header=BB8_8 Depth=1
	v_add_nc_u64_e32 v[16:17], s[36:37], v[0:1]
	s_mov_b32 s40, exec_lo
	s_delay_alu instid0(VALU_DEP_1)
	v_cmpx_gt_i64_e64 s[6:7], v[16:17]
	s_cbranch_execz .LBB8_50
; %bb.48:                               ;   in Loop: Header=BB8_8 Depth=1
	v_mov_b64_e32 v[22:23], v[10:11]
	v_dual_mov_b32 v18, v15 :: v_dual_mov_b32 v19, v15
	v_dual_mov_b32 v20, v14 :: v_dual_mov_b32 v21, v14
	v_mov_b32_e32 v31, v29
	s_mov_b32 s41, 0
.LBB8_49:                               ;   Parent Loop BB8_8 Depth=1
                                        ; =>  This Inner Loop Header: Depth=2
	flat_load_b64 v[32:33], v[22:23]
	ds_load_b64 v[34:35], v31
	v_add_nc_u64_e32 v[16:17], s[18:19], v[16:17]
	v_add_nc_u32_e32 v31, s45, v31
	s_delay_alu instid0(VALU_DEP_2) | instskip(SKIP_3) | instid1(VALU_DEP_1)
	v_cmp_le_i64_e32 vcc_lo, s[6:7], v[16:17]
	s_or_b32 s41, vcc_lo, s41
	s_wait_dscnt 0x0
	v_pk_mul_f32 v[36:37], v[18:19], v[34:35] op_sel:[0,1] op_sel_hi:[1,0]
	v_pk_fma_f32 v[38:39], v[20:21], v[34:35], v[36:37]
	v_pk_fma_f32 v[34:35], v[20:21], v[34:35], v[36:37] neg_lo:[0,0,1] neg_hi:[0,0,1]
	s_delay_alu instid0(VALU_DEP_2) | instskip(SKIP_1) | instid1(VALU_DEP_1)
	v_mov_b32_e32 v35, v39
	s_wait_loadcnt 0x0
	v_pk_add_f32 v[32:33], v[32:33], v[34:35] neg_lo:[0,1] neg_hi:[0,1]
	flat_store_b64 v[22:23], v[32:33]
	s_wait_xcnt 0x0
	v_add_nc_u64_e32 v[22:23], s[30:31], v[22:23]
	s_and_not1_b32 exec_lo, exec_lo, s41
	s_cbranch_execnz .LBB8_49
.LBB8_50:                               ;   in Loop: Header=BB8_8 Depth=1
	s_or_b32 exec_lo, exec_lo, s40
	v_cmp_lt_i64_e64 s40, s[36:37], s[26:27]
	s_and_b32 s41, s2, s40
	s_delay_alu instid0(SALU_CYCLE_1)
	s_and_saveexec_b32 s40, s41
	s_cbranch_execz .LBB8_52
; %bb.51:                               ;   in Loop: Header=BB8_8 Depth=1
	s_add_nc_u64 s[46:47], s[36:37], 1
	s_lshl_b32 s36, s36, 3
	s_mul_u64 s[46:47], s[46:47], s[22:23]
	s_add_co_i32 s36, s42, s36
	v_lshl_add_u64 v[16:17], s[46:47], 3, v[4:5]
	v_mov_b32_e32 v20, s36
	flat_load_b64 v[18:19], v[16:17]
	ds_load_b64 v[20:21], v20 offset:8
	s_wait_dscnt 0x0
	v_pk_mul_f32 v[22:23], v[14:15], v[20:21] op_sel:[1,1] op_sel_hi:[1,0]
	s_delay_alu instid0(VALU_DEP_1) | instskip(SKIP_1) | instid1(VALU_DEP_2)
	v_pk_fma_f32 v[32:33], v[14:15], v[20:21], v[22:23] op_sel_hi:[0,1,1]
	v_pk_fma_f32 v[14:15], v[14:15], v[20:21], v[22:23] neg_lo:[0,0,1] neg_hi:[0,0,1]
	v_mov_b32_e32 v15, v33
	s_wait_loadcnt 0x0
	s_delay_alu instid0(VALU_DEP_1) | instskip(NEXT) | instid1(VALU_DEP_1)
	v_pk_add_f32 v[14:15], v[18:19], v[14:15] neg_lo:[0,1] neg_hi:[0,1]
	v_cmp_gt_f32_e32 vcc_lo, 0, v15
	flat_store_b64 v[16:17], v[14:15]
	v_cndmask_b32_e64 v18, v15, -v15, vcc_lo
	v_cmp_gt_f32_e32 vcc_lo, 0, v14
	v_cndmask_b32_e64 v19, v14, -v14, vcc_lo
	s_delay_alu instid0(VALU_DEP_1)
	v_add_f32_e32 v24, v19, v18
	ds_store_b64 v27, v[14:15]
	ds_store_b32 v25, v24
.LBB8_52:                               ;   in Loop: Header=BB8_8 Depth=1
	s_wait_xcnt 0x0
	s_or_b32 exec_lo, exec_lo, s40
	s_delay_alu instid0(SALU_CYCLE_1) | instskip(SKIP_1) | instid1(SALU_CYCLE_1)
	s_or_b32 exec_lo, exec_lo, s5
	s_and_b32 s5, s2, s4
	s_and_saveexec_b32 s4, s5
	s_cbranch_execz .LBB8_43
.LBB8_53:                               ;   in Loop: Header=BB8_8 Depth=1
	v_mov_b32_e32 v24, 0
	ds_store_b64 v27, v[12:13]
	ds_store_b32 v25, v1
	s_or_b32 exec_lo, exec_lo, s4
	s_and_saveexec_b32 s4, s2
	s_cbranch_execnz .LBB8_44
	s_branch .LBB8_45
.LBB8_54:
	s_wait_kmcnt 0x0
	s_mov_b64 s[8:9], 0
.LBB8_55:
	s_mov_b32 s1, 0
	s_mov_b32 s0, exec_lo
	v_cmpx_eq_u32_e32 0, v2
	s_cbranch_execz .LBB8_58
; %bb.56:
	v_mov_b32_e32 v0, s20
	v_cmp_gt_i64_e64 s0, s[8:9], 0
	global_load_b64 v[0:1], v0, s[14:15] scale_offset
	s_wait_loadcnt 0x0
	v_readfirstlane_b32 s4, v0
	v_readfirstlane_b32 s5, v1
	s_cmp_eq_u64 s[4:5], 0
	s_cselect_b32 s3, -1, 0
	s_delay_alu instid0(SALU_CYCLE_1) | instskip(NEXT) | instid1(SALU_CYCLE_1)
	s_and_b32 s0, s3, s0
	s_and_b32 s0, s2, s0
	s_wait_xcnt 0x0
	s_and_b32 exec_lo, exec_lo, s0
	s_cbranch_execz .LBB8_58
; %bb.57:
	s_add_nc_u64 s[2:3], s[8:9], s[16:17]
	v_mov_b32_e32 v2, 0
	v_mov_b64_e32 v[0:1], s[2:3]
	s_lshl_b32 s0, s20, 3
	s_delay_alu instid0(SALU_CYCLE_1)
	s_add_nc_u64 s[0:1], s[14:15], s[0:1]
	global_store_b64 v2, v[0:1], s[0:1]
.LBB8_58:
	s_endpgm
	.section	.rodata,"a",@progbits
	.p2align	6, 0x0
	.amdhsa_kernel _ZN9rocsolver6v33100L18getf2_panel_kernelI19rocblas_complex_numIfEllPKPS3_EEvT0_S7_T2_lS7_lPS7_llPT1_S7_S7_S9_l
		.amdhsa_group_segment_fixed_size 8
		.amdhsa_private_segment_fixed_size 0
		.amdhsa_kernarg_size 368
		.amdhsa_user_sgpr_count 2
		.amdhsa_user_sgpr_dispatch_ptr 0
		.amdhsa_user_sgpr_queue_ptr 0
		.amdhsa_user_sgpr_kernarg_segment_ptr 1
		.amdhsa_user_sgpr_dispatch_id 0
		.amdhsa_user_sgpr_kernarg_preload_length 0
		.amdhsa_user_sgpr_kernarg_preload_offset 0
		.amdhsa_user_sgpr_private_segment_size 0
		.amdhsa_wavefront_size32 1
		.amdhsa_uses_dynamic_stack 0
		.amdhsa_enable_private_segment 0
		.amdhsa_system_sgpr_workgroup_id_x 1
		.amdhsa_system_sgpr_workgroup_id_y 0
		.amdhsa_system_sgpr_workgroup_id_z 1
		.amdhsa_system_sgpr_workgroup_info 0
		.amdhsa_system_vgpr_workitem_id 1
		.amdhsa_next_free_vgpr 40
		.amdhsa_next_free_sgpr 50
		.amdhsa_named_barrier_count 0
		.amdhsa_reserve_vcc 1
		.amdhsa_float_round_mode_32 0
		.amdhsa_float_round_mode_16_64 0
		.amdhsa_float_denorm_mode_32 3
		.amdhsa_float_denorm_mode_16_64 3
		.amdhsa_fp16_overflow 0
		.amdhsa_memory_ordered 1
		.amdhsa_forward_progress 1
		.amdhsa_inst_pref_size 23
		.amdhsa_round_robin_scheduling 0
		.amdhsa_exception_fp_ieee_invalid_op 0
		.amdhsa_exception_fp_denorm_src 0
		.amdhsa_exception_fp_ieee_div_zero 0
		.amdhsa_exception_fp_ieee_overflow 0
		.amdhsa_exception_fp_ieee_underflow 0
		.amdhsa_exception_fp_ieee_inexact 0
		.amdhsa_exception_int_div_zero 0
	.end_amdhsa_kernel
	.section	.text._ZN9rocsolver6v33100L18getf2_panel_kernelI19rocblas_complex_numIfEllPKPS3_EEvT0_S7_T2_lS7_lPS7_llPT1_S7_S7_S9_l,"axG",@progbits,_ZN9rocsolver6v33100L18getf2_panel_kernelI19rocblas_complex_numIfEllPKPS3_EEvT0_S7_T2_lS7_lPS7_llPT1_S7_S7_S9_l,comdat
.Lfunc_end8:
	.size	_ZN9rocsolver6v33100L18getf2_panel_kernelI19rocblas_complex_numIfEllPKPS3_EEvT0_S7_T2_lS7_lPS7_llPT1_S7_S7_S9_l, .Lfunc_end8-_ZN9rocsolver6v33100L18getf2_panel_kernelI19rocblas_complex_numIfEllPKPS3_EEvT0_S7_T2_lS7_lPS7_llPT1_S7_S7_S9_l
                                        ; -- End function
	.set _ZN9rocsolver6v33100L18getf2_panel_kernelI19rocblas_complex_numIfEllPKPS3_EEvT0_S7_T2_lS7_lPS7_llPT1_S7_S7_S9_l.num_vgpr, 40
	.set _ZN9rocsolver6v33100L18getf2_panel_kernelI19rocblas_complex_numIfEllPKPS3_EEvT0_S7_T2_lS7_lPS7_llPT1_S7_S7_S9_l.num_agpr, 0
	.set _ZN9rocsolver6v33100L18getf2_panel_kernelI19rocblas_complex_numIfEllPKPS3_EEvT0_S7_T2_lS7_lPS7_llPT1_S7_S7_S9_l.numbered_sgpr, 50
	.set _ZN9rocsolver6v33100L18getf2_panel_kernelI19rocblas_complex_numIfEllPKPS3_EEvT0_S7_T2_lS7_lPS7_llPT1_S7_S7_S9_l.num_named_barrier, 0
	.set _ZN9rocsolver6v33100L18getf2_panel_kernelI19rocblas_complex_numIfEllPKPS3_EEvT0_S7_T2_lS7_lPS7_llPT1_S7_S7_S9_l.private_seg_size, 0
	.set _ZN9rocsolver6v33100L18getf2_panel_kernelI19rocblas_complex_numIfEllPKPS3_EEvT0_S7_T2_lS7_lPS7_llPT1_S7_S7_S9_l.uses_vcc, 1
	.set _ZN9rocsolver6v33100L18getf2_panel_kernelI19rocblas_complex_numIfEllPKPS3_EEvT0_S7_T2_lS7_lPS7_llPT1_S7_S7_S9_l.uses_flat_scratch, 0
	.set _ZN9rocsolver6v33100L18getf2_panel_kernelI19rocblas_complex_numIfEllPKPS3_EEvT0_S7_T2_lS7_lPS7_llPT1_S7_S7_S9_l.has_dyn_sized_stack, 0
	.set _ZN9rocsolver6v33100L18getf2_panel_kernelI19rocblas_complex_numIfEllPKPS3_EEvT0_S7_T2_lS7_lPS7_llPT1_S7_S7_S9_l.has_recursion, 0
	.set _ZN9rocsolver6v33100L18getf2_panel_kernelI19rocblas_complex_numIfEllPKPS3_EEvT0_S7_T2_lS7_lPS7_llPT1_S7_S7_S9_l.has_indirect_call, 0
	.section	.AMDGPU.csdata,"",@progbits
; Kernel info:
; codeLenInByte = 2824
; TotalNumSgprs: 52
; NumVgprs: 40
; ScratchSize: 0
; MemoryBound: 1
; FloatMode: 240
; IeeeMode: 1
; LDSByteSize: 8 bytes/workgroup (compile time only)
; SGPRBlocks: 0
; VGPRBlocks: 2
; NumSGPRsForWavesPerEU: 52
; NumVGPRsForWavesPerEU: 40
; NamedBarCnt: 0
; Occupancy: 16
; WaveLimiterHint : 1
; COMPUTE_PGM_RSRC2:SCRATCH_EN: 0
; COMPUTE_PGM_RSRC2:USER_SGPR: 2
; COMPUTE_PGM_RSRC2:TRAP_HANDLER: 0
; COMPUTE_PGM_RSRC2:TGID_X_EN: 1
; COMPUTE_PGM_RSRC2:TGID_Y_EN: 0
; COMPUTE_PGM_RSRC2:TGID_Z_EN: 1
; COMPUTE_PGM_RSRC2:TIDIG_COMP_CNT: 1
	.section	.text._ZN9rocsolver6v33100L23getf2_npvt_panel_kernelI19rocblas_complex_numIfEllPKPS3_EEvT0_S7_T2_lS7_lPT1_S7_S7_,"axG",@progbits,_ZN9rocsolver6v33100L23getf2_npvt_panel_kernelI19rocblas_complex_numIfEllPKPS3_EEvT0_S7_T2_lS7_lPT1_S7_S7_,comdat
	.globl	_ZN9rocsolver6v33100L23getf2_npvt_panel_kernelI19rocblas_complex_numIfEllPKPS3_EEvT0_S7_T2_lS7_lPT1_S7_S7_ ; -- Begin function _ZN9rocsolver6v33100L23getf2_npvt_panel_kernelI19rocblas_complex_numIfEllPKPS3_EEvT0_S7_T2_lS7_lPT1_S7_S7_
	.p2align	8
	.type	_ZN9rocsolver6v33100L23getf2_npvt_panel_kernelI19rocblas_complex_numIfEllPKPS3_EEvT0_S7_T2_lS7_lPT1_S7_S7_,@function
_ZN9rocsolver6v33100L23getf2_npvt_panel_kernelI19rocblas_complex_numIfEllPKPS3_EEvT0_S7_T2_lS7_lPT1_S7_S7_: ; @_ZN9rocsolver6v33100L23getf2_npvt_panel_kernelI19rocblas_complex_numIfEllPKPS3_EEvT0_S7_T2_lS7_lPT1_S7_S7_
; %bb.0:
	s_load_b256 s[4:11], s[0:1], 0x0
	s_bfe_u32 s2, ttmp6, 0x40014
	s_lshr_b32 s3, ttmp7, 16
	s_add_co_i32 s2, s2, 1
	s_bfe_u32 s12, ttmp6, 0x40008
	s_mul_i32 s2, s3, s2
	s_getreg_b32 s13, hwreg(HW_REG_IB_STS2, 6, 4)
	s_add_co_i32 s12, s12, s2
	s_cmp_eq_u32 s13, 0
	v_mov_b32_e32 v2, 0
	s_cselect_b32 s24, s3, s12
	v_bfe_u32 v4, v0, 10, 10
	v_and_b32_e32 v0, 0x3ff, v0
	s_wait_kmcnt 0x0
	s_load_b64 s[16:17], s[8:9], s24 offset:0x0 scale_offset
	s_clause 0x1
	s_load_b64 s[12:13], s[0:1], 0x20
	s_load_b32 s3, s[0:1], 0x54
	v_mov_b32_e32 v1, v2
	v_cmp_eq_u32_e64 s2, 0, v4
	s_lshl_b64 s[14:15], s[10:11], 3
	s_wait_kmcnt 0x0
	s_add_nc_u64 s[18:19], s[16:17], s[14:15]
	s_and_saveexec_b32 s8, s2
	s_cbranch_execz .LBB9_4
; %bb.1:
	v_mov_b32_e32 v3, 0
	s_mov_b32 s9, exec_lo
	v_cmpx_gt_i64_e64 s[4:5], v[0:1]
	s_cbranch_execz .LBB9_3
; %bb.2:
	flat_load_b64 v[2:3], v0, s[18:19] scale_offset
.LBB9_3:
	s_wait_xcnt 0x0
	s_or_b32 exec_lo, exec_lo, s9
	v_lshl_add_u32 v5, v0, 3, 0
	s_wait_loadcnt_dscnt 0x0
	ds_store_b64 v5, v[2:3]
.LBB9_4:
	s_or_b32 exec_lo, exec_lo, s8
	v_cmp_lt_i64_e64 s8, s[6:7], 1
	s_and_b32 vcc_lo, exec_lo, s8
	s_cbranch_vccnz .LBB9_30
; %bb.5:
	v_dual_mov_b32 v7, 0 :: v_dual_add_nc_u32 v2, 2, v4
	v_mul_u64_e32 v[10:11], s[12:13], v[0:1]
	s_and_b32 s20, s3, 0xffff
	v_cmp_gt_u64_e32 vcc_lo, s[6:7], v[0:1]
	s_delay_alu instid0(VALU_DEP_3) | instskip(SKIP_3) | instid1(VALU_DEP_2)
	v_dual_mov_b32 v3, v7 :: v_dual_lshlrev_b32 v6, 3, v0
	s_lshl_b32 s20, s20, 3
	v_lshlrev_b32_e32 v12, 3, v4
	s_add_co_i32 s25, s20, 0
	v_mul_u64_e32 v[8:9], s[12:13], v[2:3]
	s_lshr_b32 s8, s3, 16
	v_cmp_gt_i64_e64 s3, s[4:5], v[0:1]
	v_add_nc_u64_e32 v[4:5], s[18:19], v[6:7]
	v_dual_add_nc_u32 v22, 0, v6 :: v_dual_add_nc_u32 v23, s25, v6
	s_mov_b32 s9, 0
	v_add3_u32 v24, s25, v12, 16
	s_mul_u64 s[4:5], s[12:13], s[8:9]
	s_add_nc_u64 s[10:11], s[6:7], -1
	s_and_b32 s26, s2, vcc_lo
	s_lshl_b32 s27, s8, 3
	v_lshl_add_u64 v[8:9], v[8:9], 3, s[14:15]
	s_lshl_b64 s[14:15], s[12:13], 3
	s_delay_alu instid0(VALU_DEP_1) | instskip(SKIP_3) | instid1(VALU_DEP_3)
	v_add_nc_u64_e32 v[8:9], v[8:9], v[6:7]
	v_lshl_add_u64 v[6:7], v[10:11], 3, s[18:19]
	v_mov_b64_e32 v[10:11], 0
	s_mov_b64 s[18:19], 0
	v_add_nc_u64_e32 v[8:9], s[16:17], v[8:9]
	s_lshl_b64 s[16:17], s[4:5], 3
	s_mov_b64 s[4:5], 0
.LBB9_6:                                ; =>This Loop Header: Depth=1
                                        ;     Child Loop BB9_20 Depth 2
	s_lshl_b32 s28, s18, 3
	s_wait_dscnt 0x0
	s_add_co_i32 s20, s28, 0
	s_barrier_signal -1
	v_mov_b32_e32 v12, s20
	s_barrier_wait -1
	ds_load_b64 v[12:13], v12
	s_wait_dscnt 0x0
	v_readfirstlane_b32 s22, v12
	v_readfirstlane_b32 s23, v13
	s_cmp_eq_f32 s22, 0
	s_cselect_b32 s20, -1, 0
	s_cmp_eq_f32 s23, 0
	s_cselect_b32 s21, -1, 0
	s_delay_alu instid0(SALU_CYCLE_1) | instskip(SKIP_2) | instid1(SALU_CYCLE_1)
	s_and_b32 s20, s20, s21
	s_cmp_eq_u64 s[4:5], 0
	s_cselect_b32 s21, -1, 0
	s_and_b32 s20, s20, s21
	s_delay_alu instid0(SALU_CYCLE_1)
	s_and_not1_b32 vcc_lo, exec_lo, s20
	s_cbranch_vccz .LBB9_9
; %bb.7:                                ;   in Loop: Header=BB9_6 Depth=1
	s_and_b32 s20, s22, 0x7fffffff
	s_and_b32 s21, s23, 0x7fffffff
	s_delay_alu instid0(SALU_CYCLE_1)
	s_cmp_ngt_f32 s20, s21
	s_cbranch_scc0 .LBB9_10
; %bb.8:                                ;   in Loop: Header=BB9_6 Depth=1
	v_div_scale_f32 v12, null, s23, s23, s22
	v_div_scale_f32 v15, vcc_lo, s22, s23, s22
	s_delay_alu instid0(VALU_DEP_2)
	v_rcp_f32_e32 v13, v12
	v_nop
	v_xor_b32_e32 v12, 0x80000000, v12
	s_delay_alu instid0(TRANS32_DEP_1) | instid1(VALU_DEP_1)
	v_fma_f32 v14, v12, v13, 1.0
	s_delay_alu instid0(VALU_DEP_1) | instskip(NEXT) | instid1(VALU_DEP_1)
	v_fmac_f32_e32 v13, v14, v13
	v_mul_f32_e32 v14, v15, v13
	s_delay_alu instid0(VALU_DEP_1) | instskip(NEXT) | instid1(VALU_DEP_1)
	v_fma_f32 v16, v12, v14, v15
	v_fmac_f32_e32 v14, v16, v13
	s_delay_alu instid0(VALU_DEP_1) | instskip(NEXT) | instid1(VALU_DEP_1)
	v_fmac_f32_e32 v15, v12, v14
	v_div_fmas_f32 v12, v15, v13, v14
	s_delay_alu instid0(VALU_DEP_1) | instskip(NEXT) | instid1(VALU_DEP_1)
	v_div_fixup_f32 v12, v12, s23, s22
	v_fma_f32 v13, s22, v12, s23
	s_delay_alu instid0(VALU_DEP_1) | instskip(SKIP_1) | instid1(VALU_DEP_2)
	v_div_scale_f32 v14, null, v13, v13, 1.0
	v_div_scale_f32 v17, vcc_lo, 1.0, v13, 1.0
	v_rcp_f32_e32 v15, v14
	v_nop
	v_xor_b32_e32 v14, 0x80000000, v14
	s_delay_alu instid0(TRANS32_DEP_1) | instid1(VALU_DEP_1)
	v_fma_f32 v16, v14, v15, 1.0
	s_delay_alu instid0(VALU_DEP_1) | instskip(NEXT) | instid1(VALU_DEP_1)
	v_fmac_f32_e32 v15, v16, v15
	v_mul_f32_e32 v16, v17, v15
	s_delay_alu instid0(VALU_DEP_1) | instskip(NEXT) | instid1(VALU_DEP_1)
	v_fma_f32 v18, v14, v16, v17
	v_fmac_f32_e32 v16, v18, v15
	s_delay_alu instid0(VALU_DEP_1) | instskip(NEXT) | instid1(VALU_DEP_1)
	v_fmac_f32_e32 v17, v14, v16
	v_div_fmas_f32 v14, v17, v15, v16
	s_delay_alu instid0(VALU_DEP_1) | instskip(NEXT) | instid1(VALU_DEP_1)
	v_div_fixup_f32 v13, v14, v13, 1.0
	v_mul_f32_e32 v14, v12, v13
	v_xor_b32_e32 v15, 0x80000000, v13
	s_delay_alu instid0(VALU_DEP_2) | instskip(NEXT) | instid1(VALU_DEP_2)
	v_mov_b32_e32 v12, v14
	v_mov_b64_e32 v[16:17], v[14:15]
	s_cbranch_execz .LBB9_11
	s_branch .LBB9_12
.LBB9_9:                                ;   in Loop: Header=BB9_6 Depth=1
                                        ; implicit-def: $vgpr15
                                        ; implicit-def: $vgpr12
                                        ; implicit-def: $vgpr16_vgpr17
	s_add_nc_u64 s[20:21], s[18:19], 1
	s_branch .LBB9_13
.LBB9_10:                               ;   in Loop: Header=BB9_6 Depth=1
                                        ; implicit-def: $vgpr15
                                        ; implicit-def: $vgpr12
                                        ; implicit-def: $vgpr16_vgpr17
.LBB9_11:                               ;   in Loop: Header=BB9_6 Depth=1
	v_div_scale_f32 v12, null, s22, s22, s23
	v_div_scale_f32 v15, vcc_lo, s23, s22, s23
	s_delay_alu instid0(VALU_DEP_2)
	v_rcp_f32_e32 v13, v12
	v_nop
	v_xor_b32_e32 v12, 0x80000000, v12
	s_delay_alu instid0(TRANS32_DEP_1) | instid1(VALU_DEP_1)
	v_fma_f32 v14, v12, v13, 1.0
	s_delay_alu instid0(VALU_DEP_1) | instskip(NEXT) | instid1(VALU_DEP_1)
	v_fmac_f32_e32 v13, v14, v13
	v_mul_f32_e32 v14, v15, v13
	s_delay_alu instid0(VALU_DEP_1) | instskip(NEXT) | instid1(VALU_DEP_1)
	v_fma_f32 v16, v12, v14, v15
	v_fmac_f32_e32 v14, v16, v13
	s_delay_alu instid0(VALU_DEP_1) | instskip(NEXT) | instid1(VALU_DEP_1)
	v_fmac_f32_e32 v15, v12, v14
	v_div_fmas_f32 v12, v15, v13, v14
	s_delay_alu instid0(VALU_DEP_1) | instskip(NEXT) | instid1(VALU_DEP_1)
	v_div_fixup_f32 v12, v12, s22, s23
	v_fma_f32 v13, s23, v12, s22
	s_delay_alu instid0(VALU_DEP_1) | instskip(NEXT) | instid1(VALU_DEP_1)
	v_div_scale_f32 v14, null, v13, v13, 1.0
	v_rcp_f32_e32 v15, v14
	v_nop
	v_xor_b32_e32 v14, 0x80000000, v14
	s_delay_alu instid0(TRANS32_DEP_1) | instid1(VALU_DEP_1)
	v_fma_f32 v16, v14, v15, 1.0
	s_delay_alu instid0(VALU_DEP_1) | instskip(SKIP_1) | instid1(VALU_DEP_1)
	v_fmac_f32_e32 v15, v16, v15
	v_div_scale_f32 v16, vcc_lo, 1.0, v13, 1.0
	v_mul_f32_e32 v17, v16, v15
	s_delay_alu instid0(VALU_DEP_1) | instskip(NEXT) | instid1(VALU_DEP_1)
	v_fma_f32 v18, v14, v17, v16
	v_fmac_f32_e32 v17, v18, v15
	s_delay_alu instid0(VALU_DEP_1) | instskip(NEXT) | instid1(VALU_DEP_1)
	v_fmac_f32_e32 v16, v14, v17
	v_div_fmas_f32 v14, v16, v15, v17
	s_delay_alu instid0(VALU_DEP_1) | instskip(NEXT) | instid1(VALU_DEP_1)
	v_div_fixup_f32 v14, v14, v13, 1.0
	v_xor_b32_e32 v13, 0x80000000, v14
	s_delay_alu instid0(VALU_DEP_1) | instskip(NEXT) | instid1(VALU_DEP_1)
	v_dual_mul_f32 v15, v12, v13 :: v_dual_mov_b32 v12, v14
	v_mov_b64_e32 v[16:17], v[14:15]
.LBB9_12:                               ;   in Loop: Header=BB9_6 Depth=1
	s_add_nc_u64 s[20:21], s[18:19], 1
	s_cbranch_execnz .LBB9_14
.LBB9_13:                               ;   in Loop: Header=BB9_6 Depth=1
	v_mov_b64_e32 v[16:17], s[22:23]
	v_dual_mov_b32 v12, s22 :: v_dual_mov_b32 v15, s23
	s_add_nc_u64 s[4:5], s[18:19], 1
.LBB9_14:                               ;   in Loop: Header=BB9_6 Depth=1
	s_mov_b32 s22, exec_lo
	v_cmpx_ne_u64_e64 s[18:19], v[0:1]
	s_cbranch_execnz .LBB9_27
; %bb.15:                               ;   in Loop: Header=BB9_6 Depth=1
	s_or_b32 exec_lo, exec_lo, s22
	s_and_saveexec_b32 s22, s26
	s_cbranch_execz .LBB9_17
.LBB9_16:                               ;   in Loop: Header=BB9_6 Depth=1
	v_lshl_add_u64 v[16:17], s[18:19], 3, v[6:7]
	flat_load_b64 v[16:17], v[16:17]
	s_wait_loadcnt_dscnt 0x0
	ds_store_b64 v23, v[16:17]
.LBB9_17:                               ;   in Loop: Header=BB9_6 Depth=1
	s_wait_xcnt 0x0
	s_or_b32 exec_lo, exec_lo, s22
	v_cmp_lt_u64_e32 vcc_lo, s[18:19], v[0:1]
	s_wait_storecnt_dscnt 0x0
	s_barrier_signal -1
	s_barrier_wait -1
	s_and_b32 s23, s3, vcc_lo
	s_delay_alu instid0(SALU_CYCLE_1)
	s_and_saveexec_b32 s22, s23
	s_cbranch_execz .LBB9_23
; %bb.18:                               ;   in Loop: Header=BB9_6 Depth=1
	v_add_nc_u64_e32 v[16:17], s[18:19], v[2:3]
	v_mov_b32_e32 v13, v15
	s_mov_b32 s23, exec_lo
	s_delay_alu instid0(VALU_DEP_2)
	v_cmpx_gt_i64_e64 s[6:7], v[16:17]
	s_cbranch_execz .LBB9_21
; %bb.19:                               ;   in Loop: Header=BB9_6 Depth=1
	v_mov_b64_e32 v[20:21], v[8:9]
	v_dual_mov_b32 v14, v15 :: v_dual_mov_b32 v15, v13
	v_dual_mov_b32 v18, v12 :: v_dual_mov_b32 v19, v12
	v_mov_b32_e32 v25, v24
	s_mov_b32 s29, 0
.LBB9_20:                               ;   Parent Loop BB9_6 Depth=1
                                        ; =>  This Inner Loop Header: Depth=2
	flat_load_b64 v[26:27], v[20:21]
	ds_load_b64 v[28:29], v25
	v_add_nc_u64_e32 v[16:17], s[8:9], v[16:17]
	v_add_nc_u32_e32 v25, s27, v25
	s_delay_alu instid0(VALU_DEP_2) | instskip(SKIP_3) | instid1(VALU_DEP_1)
	v_cmp_le_i64_e32 vcc_lo, s[6:7], v[16:17]
	s_or_b32 s29, vcc_lo, s29
	s_wait_dscnt 0x0
	v_pk_mul_f32 v[30:31], v[14:15], v[28:29] op_sel:[0,1] op_sel_hi:[1,0]
	v_pk_fma_f32 v[32:33], v[18:19], v[28:29], v[30:31]
	v_pk_fma_f32 v[28:29], v[18:19], v[28:29], v[30:31] neg_lo:[0,0,1] neg_hi:[0,0,1]
	s_delay_alu instid0(VALU_DEP_2) | instskip(SKIP_1) | instid1(VALU_DEP_1)
	v_mov_b32_e32 v29, v33
	s_wait_loadcnt 0x0
	v_pk_add_f32 v[26:27], v[26:27], v[28:29] neg_lo:[0,1] neg_hi:[0,1]
	flat_store_b64 v[20:21], v[26:27]
	s_wait_xcnt 0x0
	v_add_nc_u64_e32 v[20:21], s[16:17], v[20:21]
	s_and_not1_b32 exec_lo, exec_lo, s29
	s_cbranch_execnz .LBB9_20
.LBB9_21:                               ;   in Loop: Header=BB9_6 Depth=1
	s_or_b32 exec_lo, exec_lo, s23
	v_cmp_lt_i64_e64 s23, s[18:19], s[10:11]
	s_and_b32 s23, s2, s23
	s_delay_alu instid0(SALU_CYCLE_1)
	s_and_b32 exec_lo, exec_lo, s23
	s_cbranch_execz .LBB9_23
; %bb.22:                               ;   in Loop: Header=BB9_6 Depth=1
	s_add_nc_u64 s[30:31], s[18:19], 1
	s_add_co_i32 s23, s25, s28
	s_mul_u64 s[30:31], s[30:31], s[12:13]
	v_mov_b32_e32 v18, s23
	v_lshl_add_u64 v[14:15], s[30:31], 3, v[4:5]
	ds_load_b64 v[18:19], v18 offset:8
	flat_load_b64 v[16:17], v[14:15]
	s_wait_dscnt 0x1
	v_pk_mul_f32 v[20:21], v[12:13], v[18:19] op_sel:[1,1] op_sel_hi:[1,0]
	s_delay_alu instid0(VALU_DEP_1) | instskip(SKIP_1) | instid1(VALU_DEP_2)
	v_pk_fma_f32 v[26:27], v[12:13], v[18:19], v[20:21] op_sel_hi:[0,1,1]
	v_pk_fma_f32 v[12:13], v[12:13], v[18:19], v[20:21] neg_lo:[0,0,1] neg_hi:[0,0,1]
	v_mov_b32_e32 v13, v27
	s_wait_loadcnt_dscnt 0x0
	s_delay_alu instid0(VALU_DEP_1)
	v_pk_add_f32 v[12:13], v[16:17], v[12:13] neg_lo:[0,1] neg_hi:[0,1]
	flat_store_b64 v[14:15], v[12:13]
	ds_store_b64 v22, v[12:13]
.LBB9_23:                               ;   in Loop: Header=BB9_6 Depth=1
	s_wait_xcnt 0x0
	s_or_b32 exec_lo, exec_lo, s22
	v_cmp_ge_u64_e32 vcc_lo, s[18:19], v[0:1]
	s_and_b32 s19, s2, vcc_lo
	s_delay_alu instid0(SALU_CYCLE_1)
	s_and_saveexec_b32 s18, s19
; %bb.24:                               ;   in Loop: Header=BB9_6 Depth=1
	ds_store_b64 v22, v[10:11]
; %bb.25:                               ;   in Loop: Header=BB9_6 Depth=1
	s_or_b32 exec_lo, exec_lo, s18
	v_add_nc_u64_e32 v[8:9], s[14:15], v[8:9]
	v_add_nc_u32_e32 v24, 8, v24
	s_cmp_eq_u64 s[20:21], s[6:7]
	s_cbranch_scc1 .LBB9_31
; %bb.26:                               ;   in Loop: Header=BB9_6 Depth=1
	s_mov_b64 s[18:19], s[20:21]
	s_branch .LBB9_6
.LBB9_27:                               ;   in Loop: Header=BB9_6 Depth=1
	ds_load_b64 v[12:13], v22
	v_cmp_le_u64_e32 vcc_lo, s[18:19], v[0:1]
	s_and_b32 s23, s3, vcc_lo
	s_delay_alu instid0(SALU_CYCLE_1) | instskip(SKIP_2) | instid1(VALU_DEP_1)
	s_and_b32 s29, s2, s23
	s_wait_dscnt 0x0
	v_pk_mul_f32 v[18:19], v[16:17], v[12:13] op_sel:[1,1] op_sel_hi:[1,0]
	v_pk_fma_f32 v[14:15], v[16:17], v[12:13], v[18:19] op_sel_hi:[0,1,1]
	v_pk_fma_f32 v[12:13], v[16:17], v[12:13], v[18:19] op_sel_hi:[0,1,1] neg_lo:[0,0,1] neg_hi:[0,0,1]
	s_and_saveexec_b32 s23, s29
	s_cbranch_execz .LBB9_29
; %bb.28:                               ;   in Loop: Header=BB9_6 Depth=1
	s_mul_u64 s[30:31], s[18:19], s[12:13]
	v_mov_b32_e32 v13, v15
	v_lshl_add_u64 v[16:17], s[30:31], 3, v[4:5]
	flat_store_b64 v[16:17], v[12:13]
.LBB9_29:                               ;   in Loop: Header=BB9_6 Depth=1
	s_wait_xcnt 0x0
	s_or_b32 exec_lo, exec_lo, s23
	s_delay_alu instid0(SALU_CYCLE_1)
	s_or_b32 exec_lo, exec_lo, s22
	s_and_saveexec_b32 s22, s26
	s_cbranch_execnz .LBB9_16
	s_branch .LBB9_17
.LBB9_30:
	s_mov_b64 s[4:5], 0
.LBB9_31:
	s_mov_b32 s3, 0
	s_mov_b32 s6, exec_lo
	v_cmpx_eq_u32_e32 0, v0
	s_cbranch_execz .LBB9_34
; %bb.32:
	s_load_b64 s[6:7], s[0:1], 0x30
	v_mov_b32_e32 v0, s24
	v_cmp_gt_i64_e64 s10, s[4:5], 0
	s_wait_kmcnt 0x0
	global_load_b64 v[0:1], v0, s[6:7] scale_offset
	s_wait_loadcnt 0x0
	v_readfirstlane_b32 s8, v0
	v_readfirstlane_b32 s9, v1
	s_cmp_eq_u64 s[8:9], 0
	s_cselect_b32 s8, -1, 0
	s_delay_alu instid0(SALU_CYCLE_1) | instskip(NEXT) | instid1(SALU_CYCLE_1)
	s_and_b32 s8, s8, s10
	s_and_b32 s2, s2, s8
	s_wait_xcnt 0x0
	s_and_b32 exec_lo, exec_lo, s2
	s_cbranch_execz .LBB9_34
; %bb.33:
	s_load_b64 s[0:1], s[0:1], 0x40
	v_mov_b32_e32 v2, 0
	s_lshl_b32 s2, s24, 3
	s_wait_kmcnt 0x0
	s_add_nc_u64 s[0:1], s[4:5], s[0:1]
	s_delay_alu instid0(SALU_CYCLE_1)
	v_mov_b64_e32 v[0:1], s[0:1]
	s_add_nc_u64 s[0:1], s[6:7], s[2:3]
	global_store_b64 v2, v[0:1], s[0:1]
.LBB9_34:
	s_endpgm
	.section	.rodata,"a",@progbits
	.p2align	6, 0x0
	.amdhsa_kernel _ZN9rocsolver6v33100L23getf2_npvt_panel_kernelI19rocblas_complex_numIfEllPKPS3_EEvT0_S7_T2_lS7_lPT1_S7_S7_
		.amdhsa_group_segment_fixed_size 0
		.amdhsa_private_segment_fixed_size 0
		.amdhsa_kernarg_size 328
		.amdhsa_user_sgpr_count 2
		.amdhsa_user_sgpr_dispatch_ptr 0
		.amdhsa_user_sgpr_queue_ptr 0
		.amdhsa_user_sgpr_kernarg_segment_ptr 1
		.amdhsa_user_sgpr_dispatch_id 0
		.amdhsa_user_sgpr_kernarg_preload_length 0
		.amdhsa_user_sgpr_kernarg_preload_offset 0
		.amdhsa_user_sgpr_private_segment_size 0
		.amdhsa_wavefront_size32 1
		.amdhsa_uses_dynamic_stack 0
		.amdhsa_enable_private_segment 0
		.amdhsa_system_sgpr_workgroup_id_x 1
		.amdhsa_system_sgpr_workgroup_id_y 0
		.amdhsa_system_sgpr_workgroup_id_z 1
		.amdhsa_system_sgpr_workgroup_info 0
		.amdhsa_system_vgpr_workitem_id 1
		.amdhsa_next_free_vgpr 34
		.amdhsa_next_free_sgpr 32
		.amdhsa_named_barrier_count 0
		.amdhsa_reserve_vcc 1
		.amdhsa_float_round_mode_32 0
		.amdhsa_float_round_mode_16_64 0
		.amdhsa_float_denorm_mode_32 3
		.amdhsa_float_denorm_mode_16_64 3
		.amdhsa_fp16_overflow 0
		.amdhsa_memory_ordered 1
		.amdhsa_forward_progress 1
		.amdhsa_inst_pref_size 14
		.amdhsa_round_robin_scheduling 0
		.amdhsa_exception_fp_ieee_invalid_op 0
		.amdhsa_exception_fp_denorm_src 0
		.amdhsa_exception_fp_ieee_div_zero 0
		.amdhsa_exception_fp_ieee_overflow 0
		.amdhsa_exception_fp_ieee_underflow 0
		.amdhsa_exception_fp_ieee_inexact 0
		.amdhsa_exception_int_div_zero 0
	.end_amdhsa_kernel
	.section	.text._ZN9rocsolver6v33100L23getf2_npvt_panel_kernelI19rocblas_complex_numIfEllPKPS3_EEvT0_S7_T2_lS7_lPT1_S7_S7_,"axG",@progbits,_ZN9rocsolver6v33100L23getf2_npvt_panel_kernelI19rocblas_complex_numIfEllPKPS3_EEvT0_S7_T2_lS7_lPT1_S7_S7_,comdat
.Lfunc_end9:
	.size	_ZN9rocsolver6v33100L23getf2_npvt_panel_kernelI19rocblas_complex_numIfEllPKPS3_EEvT0_S7_T2_lS7_lPT1_S7_S7_, .Lfunc_end9-_ZN9rocsolver6v33100L23getf2_npvt_panel_kernelI19rocblas_complex_numIfEllPKPS3_EEvT0_S7_T2_lS7_lPT1_S7_S7_
                                        ; -- End function
	.set _ZN9rocsolver6v33100L23getf2_npvt_panel_kernelI19rocblas_complex_numIfEllPKPS3_EEvT0_S7_T2_lS7_lPT1_S7_S7_.num_vgpr, 34
	.set _ZN9rocsolver6v33100L23getf2_npvt_panel_kernelI19rocblas_complex_numIfEllPKPS3_EEvT0_S7_T2_lS7_lPT1_S7_S7_.num_agpr, 0
	.set _ZN9rocsolver6v33100L23getf2_npvt_panel_kernelI19rocblas_complex_numIfEllPKPS3_EEvT0_S7_T2_lS7_lPT1_S7_S7_.numbered_sgpr, 32
	.set _ZN9rocsolver6v33100L23getf2_npvt_panel_kernelI19rocblas_complex_numIfEllPKPS3_EEvT0_S7_T2_lS7_lPT1_S7_S7_.num_named_barrier, 0
	.set _ZN9rocsolver6v33100L23getf2_npvt_panel_kernelI19rocblas_complex_numIfEllPKPS3_EEvT0_S7_T2_lS7_lPT1_S7_S7_.private_seg_size, 0
	.set _ZN9rocsolver6v33100L23getf2_npvt_panel_kernelI19rocblas_complex_numIfEllPKPS3_EEvT0_S7_T2_lS7_lPT1_S7_S7_.uses_vcc, 1
	.set _ZN9rocsolver6v33100L23getf2_npvt_panel_kernelI19rocblas_complex_numIfEllPKPS3_EEvT0_S7_T2_lS7_lPT1_S7_S7_.uses_flat_scratch, 0
	.set _ZN9rocsolver6v33100L23getf2_npvt_panel_kernelI19rocblas_complex_numIfEllPKPS3_EEvT0_S7_T2_lS7_lPT1_S7_S7_.has_dyn_sized_stack, 0
	.set _ZN9rocsolver6v33100L23getf2_npvt_panel_kernelI19rocblas_complex_numIfEllPKPS3_EEvT0_S7_T2_lS7_lPT1_S7_S7_.has_recursion, 0
	.set _ZN9rocsolver6v33100L23getf2_npvt_panel_kernelI19rocblas_complex_numIfEllPKPS3_EEvT0_S7_T2_lS7_lPT1_S7_S7_.has_indirect_call, 0
	.section	.AMDGPU.csdata,"",@progbits
; Kernel info:
; codeLenInByte = 1756
; TotalNumSgprs: 34
; NumVgprs: 34
; ScratchSize: 0
; MemoryBound: 0
; FloatMode: 240
; IeeeMode: 1
; LDSByteSize: 0 bytes/workgroup (compile time only)
; SGPRBlocks: 0
; VGPRBlocks: 2
; NumSGPRsForWavesPerEU: 34
; NumVGPRsForWavesPerEU: 34
; NamedBarCnt: 0
; Occupancy: 16
; WaveLimiterHint : 1
; COMPUTE_PGM_RSRC2:SCRATCH_EN: 0
; COMPUTE_PGM_RSRC2:USER_SGPR: 2
; COMPUTE_PGM_RSRC2:TRAP_HANDLER: 0
; COMPUTE_PGM_RSRC2:TGID_X_EN: 1
; COMPUTE_PGM_RSRC2:TGID_Y_EN: 0
; COMPUTE_PGM_RSRC2:TGID_Z_EN: 1
; COMPUTE_PGM_RSRC2:TIDIG_COMP_CNT: 1
	.section	.text._ZN9rocsolver6v33100L25getf2_scale_update_kernelI19rocblas_complex_numIfElPS3_EEvT0_S5_PT_T1_lS5_l,"axG",@progbits,_ZN9rocsolver6v33100L25getf2_scale_update_kernelI19rocblas_complex_numIfElPS3_EEvT0_S5_PT_T1_lS5_l,comdat
	.globl	_ZN9rocsolver6v33100L25getf2_scale_update_kernelI19rocblas_complex_numIfElPS3_EEvT0_S5_PT_T1_lS5_l ; -- Begin function _ZN9rocsolver6v33100L25getf2_scale_update_kernelI19rocblas_complex_numIfElPS3_EEvT0_S5_PT_T1_lS5_l
	.p2align	8
	.type	_ZN9rocsolver6v33100L25getf2_scale_update_kernelI19rocblas_complex_numIfElPS3_EEvT0_S5_PT_T1_lS5_l,@function
_ZN9rocsolver6v33100L25getf2_scale_update_kernelI19rocblas_complex_numIfElPS3_EEvT0_S5_PT_T1_lS5_l: ; @_ZN9rocsolver6v33100L25getf2_scale_update_kernelI19rocblas_complex_numIfElPS3_EEvT0_S5_PT_T1_lS5_l
; %bb.0:
	s_clause 0x2
	s_load_b32 s3, s[0:1], 0x44
	s_load_b256 s[12:19], s[0:1], 0x20
	s_load_b256 s[4:11], s[0:1], 0x0
	s_wait_xcnt 0x0
	s_bfe_u32 s0, ttmp6, 0x40014
	s_lshr_b32 s2, ttmp7, 16
	s_wait_kmcnt 0x0
	s_add_co_i32 s18, s0, 1
	s_bfe_u32 s1, ttmp6, 0x40008
	s_mul_i32 s18, s2, s18
	s_getreg_b32 s0, hwreg(HW_REG_IB_STS2, 6, 4)
	s_add_co_i32 s1, s1, s18
	s_cmp_eq_u32 s0, 0
	v_and_b32_e32 v2, 0x3ff, v0
	v_bfe_u32 v0, v0, 10, 10
	v_mov_b32_e32 v1, 0
	s_cselect_b32 s18, s2, s1
	s_mov_b32 s19, 0
	s_delay_alu instid0(VALU_DEP_1)
	v_mov_b32_e32 v5, v1
	s_lshr_b32 s2, s3, 16
	s_mul_u64 s[16:17], s[16:17], s[18:19]
	v_mad_u32_u24 v4, v2, s2, v0
	s_lshl_b64 s[16:17], s[16:17], 3
	s_lshl_b64 s[12:13], s[12:13], 3
	s_add_nc_u64 s[20:21], s[10:11], s[16:17]
	s_and_b32 s1, s3, 0xffff
	s_add_nc_u64 s[20:21], s[20:21], s[12:13]
	s_mov_b32 s3, exec_lo
	v_cmpx_gt_i64_e64 s[6:7], v[4:5]
	s_cbranch_execz .LBB10_2
; %bb.1:
	v_mul_u64_e32 v[6:7], s[14:15], v[4:5]
	s_lshl_b64 s[22:23], s[14:15], 3
	v_lshlrev_b32_e32 v3, 3, v4
	s_add_nc_u64 s[22:23], s[20:21], s[22:23]
	s_lshl_b32 s19, s1, 3
	s_delay_alu instid0(VALU_DEP_1) | instid1(SALU_CYCLE_1)
	v_add3_u32 v3, 0, s19, v3
	s_delay_alu instid0(VALU_DEP_3)
	v_lshl_add_u64 v[6:7], v[6:7], 3, s[22:23]
	global_load_b64 v[6:7], v[6:7], off
	s_wait_loadcnt 0x0
	ds_store_b64 v3, v[6:7]
.LBB10_2:
	s_or_b32 exec_lo, exec_lo, s3
	s_bfe_u32 s3, ttmp6, 0x4000c
	s_and_b32 s19, ttmp6, 15
	s_add_co_i32 s3, s3, 1
	v_mov_b32_e32 v3, v1
	s_mul_i32 s3, ttmp9, s3
	s_delay_alu instid0(SALU_CYCLE_1) | instskip(SKIP_2) | instid1(SALU_CYCLE_1)
	s_add_co_i32 s19, s19, s3
	s_cmp_eq_u32 s0, 0
	s_cselect_b32 s0, ttmp9, s19
	v_mad_nc_u64_u32 v[4:5], s1, s0, v[2:3]
	v_cmp_eq_u32_e64 s0, 0, v0
	v_lshl_add_u32 v2, v2, 3, 0
	s_delay_alu instid0(VALU_DEP_3) | instskip(SKIP_1) | instid1(SALU_CYCLE_1)
	v_cmp_gt_i64_e32 vcc_lo, s[4:5], v[4:5]
	s_and_b32 s3, s0, vcc_lo
	s_and_saveexec_b32 s0, s3
	s_cbranch_execz .LBB10_4
; %bb.3:
	v_lshl_add_u64 v[6:7], v[4:5], 3, s[20:21]
	s_load_b64 s[4:5], s[8:9], s18 offset:0x0 scale_offset
	global_load_b64 v[8:9], v[6:7], off offset:8
	s_wait_kmcnt 0x0
	v_mov_b64_e32 v[10:11], s[4:5]
	s_wait_loadcnt 0x0
	s_delay_alu instid0(VALU_DEP_1) | instskip(NEXT) | instid1(VALU_DEP_1)
	v_pk_mul_f32 v[12:13], v[10:11], v[8:9] op_sel:[1,1] op_sel_hi:[0,1]
	v_pk_fma_f32 v[14:15], v[10:11], v[8:9], v[12:13] op_sel_hi:[1,0,1]
	v_pk_fma_f32 v[8:9], v[10:11], v[8:9], v[12:13] neg_lo:[0,0,1] neg_hi:[0,0,1]
	s_delay_alu instid0(VALU_DEP_2)
	v_mov_b32_e32 v9, v15
	ds_store_b64 v2, v[8:9]
	global_store_b64 v[6:7], v[8:9], off offset:8
.LBB10_4:
	s_wait_xcnt 0x0
	s_or_b32 exec_lo, exec_lo, s0
	v_cmp_gt_i64_e64 s0, s[6:7], v[0:1]
	s_wait_storecnt_dscnt 0x0
	s_barrier_signal -1
	s_barrier_wait -1
	s_and_b32 s0, vcc_lo, s0
	s_delay_alu instid0(SALU_CYCLE_1)
	s_and_saveexec_b32 s3, s0
	s_cbranch_execz .LBB10_7
; %bb.5:
	v_lshlrev_b32_e32 v8, 3, v0
	s_add_nc_u64 s[4:5], s[12:13], s[16:17]
	s_mov_b32 s3, 0
	s_delay_alu instid0(VALU_DEP_1) | instskip(NEXT) | instid1(VALU_DEP_1)
	v_add_nc_u32_e32 v3, 8, v8
	v_mad_nc_u64_u32 v[6:7], s14, v3, s[4:5]
	s_lshl_b32 s4, s1, 3
	s_mul_u64 s[0:1], s[14:15], s[2:3]
	s_mov_b32 s5, s3
	s_lshl_b64 s[0:1], s[0:1], 3
	s_delay_alu instid0(VALU_DEP_1) | instskip(SKIP_2) | instid1(VALU_DEP_1)
	v_mad_u32 v7, s15, v3, v7
	ds_load_b64 v[2:3], v2
	v_lshl_add_u64 v[4:5], v[4:5], 3, v[6:7]
	v_add_nc_u64_e32 v[6:7], s[10:11], v[4:5]
	s_wait_dscnt 0x0
	v_dual_mov_b32 v4, v2 :: v_dual_mov_b32 v5, v2
	s_delay_alu instid0(VALU_DEP_2)
	v_add_nc_u64_e32 v[6:7], 8, v[6:7]
	v_mov_b32_e32 v2, v3
	v_add3_u32 v8, 0, s4, v8
	s_lshl_b32 s4, s2, 3
.LBB10_6:                               ; =>This Inner Loop Header: Depth=1
	global_load_b64 v[10:11], v[6:7], off
	ds_load_b64 v[12:13], v8
	v_add_nc_u64_e32 v[0:1], s[2:3], v[0:1]
	v_add_nc_u32_e32 v8, s4, v8
	s_delay_alu instid0(VALU_DEP_2) | instskip(SKIP_3) | instid1(VALU_DEP_1)
	v_cmp_le_i64_e32 vcc_lo, s[6:7], v[0:1]
	s_or_b32 s5, vcc_lo, s5
	s_wait_dscnt 0x0
	v_pk_mul_f32 v[14:15], v[12:13], v[2:3] op_sel:[1,0] op_sel_hi:[0,1]
	v_pk_fma_f32 v[16:17], v[12:13], v[4:5], v[14:15]
	v_pk_fma_f32 v[12:13], v[12:13], v[4:5], v[14:15] neg_lo:[0,0,1] neg_hi:[0,0,1]
	s_delay_alu instid0(VALU_DEP_2) | instskip(SKIP_1) | instid1(VALU_DEP_1)
	v_mov_b32_e32 v13, v17
	s_wait_loadcnt 0x0
	v_pk_add_f32 v[10:11], v[10:11], v[12:13] neg_lo:[0,1] neg_hi:[0,1]
	global_store_b64 v[6:7], v[10:11], off
	s_wait_xcnt 0x0
	v_add_nc_u64_e32 v[6:7], s[0:1], v[6:7]
	s_and_not1_b32 exec_lo, exec_lo, s5
	s_cbranch_execnz .LBB10_6
.LBB10_7:
	s_endpgm
	.section	.rodata,"a",@progbits
	.p2align	6, 0x0
	.amdhsa_kernel _ZN9rocsolver6v33100L25getf2_scale_update_kernelI19rocblas_complex_numIfElPS3_EEvT0_S5_PT_T1_lS5_l
		.amdhsa_group_segment_fixed_size 0
		.amdhsa_private_segment_fixed_size 0
		.amdhsa_kernarg_size 312
		.amdhsa_user_sgpr_count 2
		.amdhsa_user_sgpr_dispatch_ptr 0
		.amdhsa_user_sgpr_queue_ptr 0
		.amdhsa_user_sgpr_kernarg_segment_ptr 1
		.amdhsa_user_sgpr_dispatch_id 0
		.amdhsa_user_sgpr_kernarg_preload_length 0
		.amdhsa_user_sgpr_kernarg_preload_offset 0
		.amdhsa_user_sgpr_private_segment_size 0
		.amdhsa_wavefront_size32 1
		.amdhsa_uses_dynamic_stack 0
		.amdhsa_enable_private_segment 0
		.amdhsa_system_sgpr_workgroup_id_x 1
		.amdhsa_system_sgpr_workgroup_id_y 0
		.amdhsa_system_sgpr_workgroup_id_z 1
		.amdhsa_system_sgpr_workgroup_info 0
		.amdhsa_system_vgpr_workitem_id 1
		.amdhsa_next_free_vgpr 18
		.amdhsa_next_free_sgpr 24
		.amdhsa_named_barrier_count 0
		.amdhsa_reserve_vcc 1
		.amdhsa_float_round_mode_32 0
		.amdhsa_float_round_mode_16_64 0
		.amdhsa_float_denorm_mode_32 3
		.amdhsa_float_denorm_mode_16_64 3
		.amdhsa_fp16_overflow 0
		.amdhsa_memory_ordered 1
		.amdhsa_forward_progress 1
		.amdhsa_inst_pref_size 6
		.amdhsa_round_robin_scheduling 0
		.amdhsa_exception_fp_ieee_invalid_op 0
		.amdhsa_exception_fp_denorm_src 0
		.amdhsa_exception_fp_ieee_div_zero 0
		.amdhsa_exception_fp_ieee_overflow 0
		.amdhsa_exception_fp_ieee_underflow 0
		.amdhsa_exception_fp_ieee_inexact 0
		.amdhsa_exception_int_div_zero 0
	.end_amdhsa_kernel
	.section	.text._ZN9rocsolver6v33100L25getf2_scale_update_kernelI19rocblas_complex_numIfElPS3_EEvT0_S5_PT_T1_lS5_l,"axG",@progbits,_ZN9rocsolver6v33100L25getf2_scale_update_kernelI19rocblas_complex_numIfElPS3_EEvT0_S5_PT_T1_lS5_l,comdat
.Lfunc_end10:
	.size	_ZN9rocsolver6v33100L25getf2_scale_update_kernelI19rocblas_complex_numIfElPS3_EEvT0_S5_PT_T1_lS5_l, .Lfunc_end10-_ZN9rocsolver6v33100L25getf2_scale_update_kernelI19rocblas_complex_numIfElPS3_EEvT0_S5_PT_T1_lS5_l
                                        ; -- End function
	.set _ZN9rocsolver6v33100L25getf2_scale_update_kernelI19rocblas_complex_numIfElPS3_EEvT0_S5_PT_T1_lS5_l.num_vgpr, 18
	.set _ZN9rocsolver6v33100L25getf2_scale_update_kernelI19rocblas_complex_numIfElPS3_EEvT0_S5_PT_T1_lS5_l.num_agpr, 0
	.set _ZN9rocsolver6v33100L25getf2_scale_update_kernelI19rocblas_complex_numIfElPS3_EEvT0_S5_PT_T1_lS5_l.numbered_sgpr, 24
	.set _ZN9rocsolver6v33100L25getf2_scale_update_kernelI19rocblas_complex_numIfElPS3_EEvT0_S5_PT_T1_lS5_l.num_named_barrier, 0
	.set _ZN9rocsolver6v33100L25getf2_scale_update_kernelI19rocblas_complex_numIfElPS3_EEvT0_S5_PT_T1_lS5_l.private_seg_size, 0
	.set _ZN9rocsolver6v33100L25getf2_scale_update_kernelI19rocblas_complex_numIfElPS3_EEvT0_S5_PT_T1_lS5_l.uses_vcc, 1
	.set _ZN9rocsolver6v33100L25getf2_scale_update_kernelI19rocblas_complex_numIfElPS3_EEvT0_S5_PT_T1_lS5_l.uses_flat_scratch, 0
	.set _ZN9rocsolver6v33100L25getf2_scale_update_kernelI19rocblas_complex_numIfElPS3_EEvT0_S5_PT_T1_lS5_l.has_dyn_sized_stack, 0
	.set _ZN9rocsolver6v33100L25getf2_scale_update_kernelI19rocblas_complex_numIfElPS3_EEvT0_S5_PT_T1_lS5_l.has_recursion, 0
	.set _ZN9rocsolver6v33100L25getf2_scale_update_kernelI19rocblas_complex_numIfElPS3_EEvT0_S5_PT_T1_lS5_l.has_indirect_call, 0
	.section	.AMDGPU.csdata,"",@progbits
; Kernel info:
; codeLenInByte = 696
; TotalNumSgprs: 26
; NumVgprs: 18
; ScratchSize: 0
; MemoryBound: 0
; FloatMode: 240
; IeeeMode: 1
; LDSByteSize: 0 bytes/workgroup (compile time only)
; SGPRBlocks: 0
; VGPRBlocks: 1
; NumSGPRsForWavesPerEU: 26
; NumVGPRsForWavesPerEU: 18
; NamedBarCnt: 0
; Occupancy: 16
; WaveLimiterHint : 0
; COMPUTE_PGM_RSRC2:SCRATCH_EN: 0
; COMPUTE_PGM_RSRC2:USER_SGPR: 2
; COMPUTE_PGM_RSRC2:TRAP_HANDLER: 0
; COMPUTE_PGM_RSRC2:TGID_X_EN: 1
; COMPUTE_PGM_RSRC2:TGID_Y_EN: 0
; COMPUTE_PGM_RSRC2:TGID_Z_EN: 1
; COMPUTE_PGM_RSRC2:TIDIG_COMP_CNT: 1
	.section	.text._ZN9rocsolver6v33100L25getf2_scale_update_kernelI19rocblas_complex_numIfElPKPS3_EEvT0_S7_PT_T1_lS7_l,"axG",@progbits,_ZN9rocsolver6v33100L25getf2_scale_update_kernelI19rocblas_complex_numIfElPKPS3_EEvT0_S7_PT_T1_lS7_l,comdat
	.globl	_ZN9rocsolver6v33100L25getf2_scale_update_kernelI19rocblas_complex_numIfElPKPS3_EEvT0_S7_PT_T1_lS7_l ; -- Begin function _ZN9rocsolver6v33100L25getf2_scale_update_kernelI19rocblas_complex_numIfElPKPS3_EEvT0_S7_PT_T1_lS7_l
	.p2align	8
	.type	_ZN9rocsolver6v33100L25getf2_scale_update_kernelI19rocblas_complex_numIfElPKPS3_EEvT0_S7_PT_T1_lS7_l,@function
_ZN9rocsolver6v33100L25getf2_scale_update_kernelI19rocblas_complex_numIfElPKPS3_EEvT0_S7_PT_T1_lS7_l: ; @_ZN9rocsolver6v33100L25getf2_scale_update_kernelI19rocblas_complex_numIfElPKPS3_EEvT0_S7_PT_T1_lS7_l
; %bb.0:
	s_clause 0x1
	s_load_b32 s2, s[0:1], 0x44
	s_load_b256 s[4:11], s[0:1], 0x0
	s_bfe_u32 s3, ttmp6, 0x40014
	s_lshr_b32 s13, ttmp7, 16
	s_add_co_i32 s3, s3, 1
	s_bfe_u32 s14, ttmp6, 0x40008
	s_mul_i32 s3, s13, s3
	s_getreg_b32 s19, hwreg(HW_REG_IB_STS2, 6, 4)
	s_add_co_i32 s14, s14, s3
	v_and_b32_e32 v4, 0x3ff, v0
	v_bfe_u32 v0, v0, 10, 10
	v_mov_b32_e32 v1, 0
	s_delay_alu instid0(VALU_DEP_1)
	v_mov_b32_e32 v3, v1
	s_wait_kmcnt 0x0
	s_lshr_b32 s12, s2, 16
	s_and_b32 s18, s2, 0xffff
	s_cmp_eq_u32 s19, 0
	s_load_b128 s[0:3], s[0:1], 0x20
	s_cselect_b32 s13, s13, s14
	v_mad_u32_u24 v2, v4, s12, v0
	s_load_b64 s[10:11], s[10:11], s13 offset:0x0 scale_offset
	s_wait_kmcnt 0x0
	s_lshl_b64 s[14:15], s[0:1], 3
	s_mov_b32 s0, exec_lo
	s_add_nc_u64 s[16:17], s[10:11], s[14:15]
	v_cmpx_gt_i64_e64 s[6:7], v[2:3]
	s_cbranch_execz .LBB11_2
; %bb.1:
	v_mul_u64_e32 v[6:7], s[2:3], v[2:3]
	s_lshl_b64 s[20:21], s[2:3], 3
	v_lshlrev_b32_e32 v2, 3, v2
	s_add_nc_u64 s[20:21], s[16:17], s[20:21]
	s_lshl_b32 s1, s18, 3
	s_delay_alu instid0(VALU_DEP_1) | instid1(SALU_CYCLE_1)
	v_add3_u32 v2, 0, s1, v2
	s_delay_alu instid0(VALU_DEP_3)
	v_lshl_add_u64 v[6:7], v[6:7], 3, s[20:21]
	flat_load_b64 v[6:7], v[6:7]
	s_wait_loadcnt_dscnt 0x0
	ds_store_b64 v2, v[6:7]
.LBB11_2:
	s_or_b32 exec_lo, exec_lo, s0
	s_bfe_u32 s0, ttmp6, 0x4000c
	s_and_b32 s1, ttmp6, 15
	s_add_co_i32 s0, s0, 1
	v_mov_b32_e32 v5, v1
	s_mul_i32 s0, ttmp9, s0
	s_delay_alu instid0(SALU_CYCLE_1) | instskip(SKIP_2) | instid1(SALU_CYCLE_1)
	s_add_co_i32 s1, s1, s0
	s_cmp_eq_u32 s19, 0
	s_cselect_b32 s0, ttmp9, s1
	v_mad_nc_u64_u32 v[2:3], s18, s0, v[4:5]
	v_cmp_eq_u32_e64 s0, 0, v0
	v_lshl_add_u32 v4, v4, 3, 0
	s_delay_alu instid0(VALU_DEP_3) | instskip(SKIP_1) | instid1(SALU_CYCLE_1)
	v_cmp_gt_i64_e32 vcc_lo, s[4:5], v[2:3]
	s_and_b32 s1, s0, vcc_lo
	s_and_saveexec_b32 s0, s1
	s_cbranch_execz .LBB11_4
; %bb.3:
	v_lshl_add_u64 v[6:7], v[2:3], 3, s[16:17]
	s_load_b64 s[4:5], s[8:9], s13 offset:0x0 scale_offset
	flat_load_b64 v[8:9], v[6:7] offset:8
	s_wait_kmcnt 0x0
	v_mov_b64_e32 v[10:11], s[4:5]
	s_wait_loadcnt_dscnt 0x0
	s_delay_alu instid0(VALU_DEP_1) | instskip(NEXT) | instid1(VALU_DEP_1)
	v_pk_mul_f32 v[12:13], v[10:11], v[8:9] op_sel:[1,1] op_sel_hi:[0,1]
	v_pk_fma_f32 v[14:15], v[10:11], v[8:9], v[12:13] op_sel_hi:[1,0,1]
	v_pk_fma_f32 v[8:9], v[10:11], v[8:9], v[12:13] neg_lo:[0,0,1] neg_hi:[0,0,1]
	s_delay_alu instid0(VALU_DEP_2)
	v_mov_b32_e32 v9, v15
	ds_store_b64 v4, v[8:9]
	flat_store_b64 v[6:7], v[8:9] offset:8
.LBB11_4:
	s_wait_xcnt 0x0
	s_or_b32 exec_lo, exec_lo, s0
	v_cmp_gt_i64_e64 s0, s[6:7], v[0:1]
	s_wait_storecnt_dscnt 0x0
	s_barrier_signal -1
	s_barrier_wait -1
	s_and_b32 s0, vcc_lo, s0
	s_delay_alu instid0(SALU_CYCLE_1)
	s_and_saveexec_b32 s1, s0
	s_cbranch_execz .LBB11_7
; %bb.5:
	v_lshlrev_b32_e32 v5, 3, v0
	s_lshl_b32 s4, s18, 3
	s_mov_b32 s13, 0
	s_delay_alu instid0(SALU_CYCLE_1) | instskip(NEXT) | instid1(VALU_DEP_1)
	s_mul_u64 s[0:1], s[2:3], s[12:13]
	v_add_nc_u32_e32 v8, 8, v5
	v_add3_u32 v5, 0, s4, v5
	s_lshl_b64 s[0:1], s[0:1], 3
	s_delay_alu instid0(VALU_DEP_2) | instskip(SKIP_1) | instid1(VALU_DEP_1)
	v_mad_nc_u64_u32 v[6:7], s2, v8, s[14:15]
	s_lshl_b32 s2, s12, 3
	v_mad_u32 v7, s3, v8, v7
	s_mov_b32 s3, s13
	s_delay_alu instid0(VALU_DEP_1) | instskip(NEXT) | instid1(VALU_DEP_1)
	v_lshl_add_u64 v[2:3], v[2:3], 3, v[6:7]
	v_add_nc_u64_e32 v[2:3], s[10:11], v[2:3]
	s_delay_alu instid0(VALU_DEP_1)
	v_add_nc_u64_e32 v[2:3], 8, v[2:3]
.LBB11_6:                               ; =>This Inner Loop Header: Depth=1
	flat_load_b64 v[6:7], v[2:3]
	ds_load_b64 v[8:9], v4
	ds_load_b64 v[10:11], v5
	v_add_nc_u64_e32 v[0:1], s[12:13], v[0:1]
	v_add_nc_u32_e32 v5, s2, v5
	s_delay_alu instid0(VALU_DEP_2) | instskip(SKIP_3) | instid1(VALU_DEP_1)
	v_cmp_le_i64_e32 vcc_lo, s[6:7], v[0:1]
	s_or_b32 s3, vcc_lo, s3
	s_wait_dscnt 0x0
	v_pk_mul_f32 v[12:13], v[10:11], v[8:9] op_sel:[1,1] op_sel_hi:[0,1]
	v_pk_fma_f32 v[14:15], v[10:11], v[8:9], v[12:13] op_sel_hi:[1,0,1]
	v_pk_fma_f32 v[8:9], v[10:11], v[8:9], v[12:13] neg_lo:[0,0,1] neg_hi:[0,0,1]
	s_delay_alu instid0(VALU_DEP_2) | instskip(SKIP_1) | instid1(VALU_DEP_1)
	v_mov_b32_e32 v9, v15
	s_wait_loadcnt 0x0
	v_pk_add_f32 v[6:7], v[6:7], v[8:9] neg_lo:[0,1] neg_hi:[0,1]
	flat_store_b64 v[2:3], v[6:7]
	s_wait_xcnt 0x0
	v_add_nc_u64_e32 v[2:3], s[0:1], v[2:3]
	s_and_not1_b32 exec_lo, exec_lo, s3
	s_cbranch_execnz .LBB11_6
.LBB11_7:
	s_endpgm
	.section	.rodata,"a",@progbits
	.p2align	6, 0x0
	.amdhsa_kernel _ZN9rocsolver6v33100L25getf2_scale_update_kernelI19rocblas_complex_numIfElPKPS3_EEvT0_S7_PT_T1_lS7_l
		.amdhsa_group_segment_fixed_size 0
		.amdhsa_private_segment_fixed_size 0
		.amdhsa_kernarg_size 312
		.amdhsa_user_sgpr_count 2
		.amdhsa_user_sgpr_dispatch_ptr 0
		.amdhsa_user_sgpr_queue_ptr 0
		.amdhsa_user_sgpr_kernarg_segment_ptr 1
		.amdhsa_user_sgpr_dispatch_id 0
		.amdhsa_user_sgpr_kernarg_preload_length 0
		.amdhsa_user_sgpr_kernarg_preload_offset 0
		.amdhsa_user_sgpr_private_segment_size 0
		.amdhsa_wavefront_size32 1
		.amdhsa_uses_dynamic_stack 0
		.amdhsa_enable_private_segment 0
		.amdhsa_system_sgpr_workgroup_id_x 1
		.amdhsa_system_sgpr_workgroup_id_y 0
		.amdhsa_system_sgpr_workgroup_id_z 1
		.amdhsa_system_sgpr_workgroup_info 0
		.amdhsa_system_vgpr_workitem_id 1
		.amdhsa_next_free_vgpr 16
		.amdhsa_next_free_sgpr 22
		.amdhsa_named_barrier_count 0
		.amdhsa_reserve_vcc 1
		.amdhsa_float_round_mode_32 0
		.amdhsa_float_round_mode_16_64 0
		.amdhsa_float_denorm_mode_32 3
		.amdhsa_float_denorm_mode_16_64 3
		.amdhsa_fp16_overflow 0
		.amdhsa_memory_ordered 1
		.amdhsa_forward_progress 1
		.amdhsa_inst_pref_size 6
		.amdhsa_round_robin_scheduling 0
		.amdhsa_exception_fp_ieee_invalid_op 0
		.amdhsa_exception_fp_denorm_src 0
		.amdhsa_exception_fp_ieee_div_zero 0
		.amdhsa_exception_fp_ieee_overflow 0
		.amdhsa_exception_fp_ieee_underflow 0
		.amdhsa_exception_fp_ieee_inexact 0
		.amdhsa_exception_int_div_zero 0
	.end_amdhsa_kernel
	.section	.text._ZN9rocsolver6v33100L25getf2_scale_update_kernelI19rocblas_complex_numIfElPKPS3_EEvT0_S7_PT_T1_lS7_l,"axG",@progbits,_ZN9rocsolver6v33100L25getf2_scale_update_kernelI19rocblas_complex_numIfElPKPS3_EEvT0_S7_PT_T1_lS7_l,comdat
.Lfunc_end11:
	.size	_ZN9rocsolver6v33100L25getf2_scale_update_kernelI19rocblas_complex_numIfElPKPS3_EEvT0_S7_PT_T1_lS7_l, .Lfunc_end11-_ZN9rocsolver6v33100L25getf2_scale_update_kernelI19rocblas_complex_numIfElPKPS3_EEvT0_S7_PT_T1_lS7_l
                                        ; -- End function
	.set _ZN9rocsolver6v33100L25getf2_scale_update_kernelI19rocblas_complex_numIfElPKPS3_EEvT0_S7_PT_T1_lS7_l.num_vgpr, 16
	.set _ZN9rocsolver6v33100L25getf2_scale_update_kernelI19rocblas_complex_numIfElPKPS3_EEvT0_S7_PT_T1_lS7_l.num_agpr, 0
	.set _ZN9rocsolver6v33100L25getf2_scale_update_kernelI19rocblas_complex_numIfElPKPS3_EEvT0_S7_PT_T1_lS7_l.numbered_sgpr, 22
	.set _ZN9rocsolver6v33100L25getf2_scale_update_kernelI19rocblas_complex_numIfElPKPS3_EEvT0_S7_PT_T1_lS7_l.num_named_barrier, 0
	.set _ZN9rocsolver6v33100L25getf2_scale_update_kernelI19rocblas_complex_numIfElPKPS3_EEvT0_S7_PT_T1_lS7_l.private_seg_size, 0
	.set _ZN9rocsolver6v33100L25getf2_scale_update_kernelI19rocblas_complex_numIfElPKPS3_EEvT0_S7_PT_T1_lS7_l.uses_vcc, 1
	.set _ZN9rocsolver6v33100L25getf2_scale_update_kernelI19rocblas_complex_numIfElPKPS3_EEvT0_S7_PT_T1_lS7_l.uses_flat_scratch, 0
	.set _ZN9rocsolver6v33100L25getf2_scale_update_kernelI19rocblas_complex_numIfElPKPS3_EEvT0_S7_PT_T1_lS7_l.has_dyn_sized_stack, 0
	.set _ZN9rocsolver6v33100L25getf2_scale_update_kernelI19rocblas_complex_numIfElPKPS3_EEvT0_S7_PT_T1_lS7_l.has_recursion, 0
	.set _ZN9rocsolver6v33100L25getf2_scale_update_kernelI19rocblas_complex_numIfElPKPS3_EEvT0_S7_PT_T1_lS7_l.has_indirect_call, 0
	.section	.AMDGPU.csdata,"",@progbits
; Kernel info:
; codeLenInByte = 672
; TotalNumSgprs: 24
; NumVgprs: 16
; ScratchSize: 0
; MemoryBound: 0
; FloatMode: 240
; IeeeMode: 1
; LDSByteSize: 0 bytes/workgroup (compile time only)
; SGPRBlocks: 0
; VGPRBlocks: 0
; NumSGPRsForWavesPerEU: 24
; NumVGPRsForWavesPerEU: 16
; NamedBarCnt: 0
; Occupancy: 16
; WaveLimiterHint : 1
; COMPUTE_PGM_RSRC2:SCRATCH_EN: 0
; COMPUTE_PGM_RSRC2:USER_SGPR: 2
; COMPUTE_PGM_RSRC2:TRAP_HANDLER: 0
; COMPUTE_PGM_RSRC2:TGID_X_EN: 1
; COMPUTE_PGM_RSRC2:TGID_Y_EN: 0
; COMPUTE_PGM_RSRC2:TGID_Z_EN: 1
; COMPUTE_PGM_RSRC2:TIDIG_COMP_CNT: 1
	.section	.AMDGPU.gpr_maximums,"",@progbits
	.set amdgpu.max_num_vgpr, 0
	.set amdgpu.max_num_agpr, 0
	.set amdgpu.max_num_sgpr, 0
	.section	.AMDGPU.csdata,"",@progbits
	.type	__hip_cuid_5648f7bb2eca4e8a,@object ; @__hip_cuid_5648f7bb2eca4e8a
	.section	.bss,"aw",@nobits
	.globl	__hip_cuid_5648f7bb2eca4e8a
__hip_cuid_5648f7bb2eca4e8a:
	.byte	0                               ; 0x0
	.size	__hip_cuid_5648f7bb2eca4e8a, 1

	.ident	"AMD clang version 22.0.0git (https://github.com/RadeonOpenCompute/llvm-project roc-7.2.4 26084 f58b06dce1f9c15707c5f808fd002e18c2accf7e)"
	.section	".note.GNU-stack","",@progbits
	.addrsig
	.addrsig_sym __hip_cuid_5648f7bb2eca4e8a
	.amdgpu_metadata
---
amdhsa.kernels:
  - .args:
      - .offset:         0
        .size:           4
        .value_kind:     by_value
      - .offset:         4
        .size:           4
        .value_kind:     by_value
      - .address_space:  global
        .offset:         8
        .size:           8
        .value_kind:     global_buffer
      - .offset:         16
        .size:           8
        .value_kind:     by_value
      - .offset:         24
        .size:           4
        .value_kind:     by_value
      - .offset:         32
        .size:           8
        .value_kind:     by_value
      - .address_space:  global
        .offset:         40
        .size:           8
        .value_kind:     global_buffer
      - .offset:         48
        .size:           8
        .value_kind:     by_value
      - .offset:         56
        .size:           8
        .value_kind:     by_value
      - .address_space:  global
        .offset:         64
        .size:           8
        .value_kind:     global_buffer
      - .offset:         72
        .size:           4
        .value_kind:     by_value
      - .offset:         76
        .size:           4
        .value_kind:     by_value
      - .address_space:  global
        .offset:         80
        .size:           8
        .value_kind:     global_buffer
      - .offset:         88
        .size:           8
        .value_kind:     by_value
      - .offset:         96
        .size:           4
        .value_kind:     hidden_block_count_x
      - .offset:         100
        .size:           4
        .value_kind:     hidden_block_count_y
      - .offset:         104
        .size:           4
        .value_kind:     hidden_block_count_z
      - .offset:         108
        .size:           2
        .value_kind:     hidden_group_size_x
      - .offset:         110
        .size:           2
        .value_kind:     hidden_group_size_y
      - .offset:         112
        .size:           2
        .value_kind:     hidden_group_size_z
      - .offset:         114
        .size:           2
        .value_kind:     hidden_remainder_x
      - .offset:         116
        .size:           2
        .value_kind:     hidden_remainder_y
      - .offset:         118
        .size:           2
        .value_kind:     hidden_remainder_z
      - .offset:         136
        .size:           8
        .value_kind:     hidden_global_offset_x
      - .offset:         144
        .size:           8
        .value_kind:     hidden_global_offset_y
      - .offset:         152
        .size:           8
        .value_kind:     hidden_global_offset_z
      - .offset:         160
        .size:           2
        .value_kind:     hidden_grid_dims
      - .offset:         216
        .size:           4
        .value_kind:     hidden_dynamic_lds_size
    .group_segment_fixed_size: 8
    .kernarg_segment_align: 8
    .kernarg_segment_size: 352
    .language:       OpenCL C
    .language_version:
      - 2
      - 0
    .max_flat_workgroup_size: 1024
    .name:           _ZN9rocsolver6v33100L18getf2_panel_kernelI19rocblas_complex_numIfEiiPS3_EEvT0_S5_T2_lS5_lPS5_llPT1_S5_S5_S7_l
    .private_segment_fixed_size: 0
    .sgpr_count:     38
    .sgpr_spill_count: 0
    .symbol:         _ZN9rocsolver6v33100L18getf2_panel_kernelI19rocblas_complex_numIfEiiPS3_EEvT0_S5_T2_lS5_lPS5_llPT1_S5_S5_S7_l.kd
    .uniform_work_group_size: 1
    .uses_dynamic_stack: false
    .vgpr_count:     36
    .vgpr_spill_count: 0
    .wavefront_size: 32
  - .args:
      - .offset:         0
        .size:           4
        .value_kind:     by_value
      - .offset:         4
        .size:           4
        .value_kind:     by_value
      - .address_space:  global
        .offset:         8
        .size:           8
        .value_kind:     global_buffer
      - .offset:         16
        .size:           8
        .value_kind:     by_value
      - .offset:         24
        .size:           4
        .value_kind:     by_value
      - .offset:         32
        .size:           8
        .value_kind:     by_value
      - .address_space:  global
        .offset:         40
        .size:           8
        .value_kind:     global_buffer
      - .offset:         48
        .size:           4
        .value_kind:     by_value
      - .offset:         52
        .size:           4
        .value_kind:     by_value
      - .offset:         56
        .size:           4
        .value_kind:     hidden_block_count_x
      - .offset:         60
        .size:           4
        .value_kind:     hidden_block_count_y
      - .offset:         64
        .size:           4
        .value_kind:     hidden_block_count_z
      - .offset:         68
        .size:           2
        .value_kind:     hidden_group_size_x
      - .offset:         70
        .size:           2
        .value_kind:     hidden_group_size_y
      - .offset:         72
        .size:           2
        .value_kind:     hidden_group_size_z
      - .offset:         74
        .size:           2
        .value_kind:     hidden_remainder_x
      - .offset:         76
        .size:           2
        .value_kind:     hidden_remainder_y
      - .offset:         78
        .size:           2
        .value_kind:     hidden_remainder_z
      - .offset:         96
        .size:           8
        .value_kind:     hidden_global_offset_x
      - .offset:         104
        .size:           8
        .value_kind:     hidden_global_offset_y
      - .offset:         112
        .size:           8
        .value_kind:     hidden_global_offset_z
      - .offset:         120
        .size:           2
        .value_kind:     hidden_grid_dims
      - .offset:         176
        .size:           4
        .value_kind:     hidden_dynamic_lds_size
    .group_segment_fixed_size: 0
    .kernarg_segment_align: 8
    .kernarg_segment_size: 312
    .language:       OpenCL C
    .language_version:
      - 2
      - 0
    .max_flat_workgroup_size: 1024
    .name:           _ZN9rocsolver6v33100L23getf2_npvt_panel_kernelI19rocblas_complex_numIfEiiPS3_EEvT0_S5_T2_lS5_lPT1_S5_S5_
    .private_segment_fixed_size: 0
    .sgpr_count:     26
    .sgpr_spill_count: 0
    .symbol:         _ZN9rocsolver6v33100L23getf2_npvt_panel_kernelI19rocblas_complex_numIfEiiPS3_EEvT0_S5_T2_lS5_lPT1_S5_S5_.kd
    .uniform_work_group_size: 1
    .uses_dynamic_stack: false
    .vgpr_count:     28
    .vgpr_spill_count: 0
    .wavefront_size: 32
  - .args:
      - .offset:         0
        .size:           4
        .value_kind:     by_value
      - .offset:         4
        .size:           4
        .value_kind:     by_value
      - .address_space:  global
        .offset:         8
        .size:           8
        .value_kind:     global_buffer
      - .offset:         16
        .size:           8
        .value_kind:     by_value
      - .offset:         24
        .size:           4
        .value_kind:     by_value
      - .offset:         32
        .size:           8
        .value_kind:     by_value
      - .address_space:  global
        .offset:         40
        .size:           8
        .value_kind:     global_buffer
      - .offset:         48
        .size:           8
        .value_kind:     by_value
      - .offset:         56
        .size:           8
        .value_kind:     by_value
      - .address_space:  global
        .offset:         64
        .size:           8
        .value_kind:     global_buffer
      - .offset:         72
        .size:           4
        .value_kind:     by_value
      - .offset:         76
        .size:           4
        .value_kind:     by_value
      - .address_space:  global
        .offset:         80
        .size:           8
        .value_kind:     global_buffer
      - .offset:         88
        .size:           8
        .value_kind:     by_value
      - .offset:         96
        .size:           4
        .value_kind:     hidden_block_count_x
      - .offset:         100
        .size:           4
        .value_kind:     hidden_block_count_y
      - .offset:         104
        .size:           4
        .value_kind:     hidden_block_count_z
      - .offset:         108
        .size:           2
        .value_kind:     hidden_group_size_x
      - .offset:         110
        .size:           2
        .value_kind:     hidden_group_size_y
      - .offset:         112
        .size:           2
        .value_kind:     hidden_group_size_z
      - .offset:         114
        .size:           2
        .value_kind:     hidden_remainder_x
      - .offset:         116
        .size:           2
        .value_kind:     hidden_remainder_y
      - .offset:         118
        .size:           2
        .value_kind:     hidden_remainder_z
      - .offset:         136
        .size:           8
        .value_kind:     hidden_global_offset_x
      - .offset:         144
        .size:           8
        .value_kind:     hidden_global_offset_y
      - .offset:         152
        .size:           8
        .value_kind:     hidden_global_offset_z
      - .offset:         160
        .size:           2
        .value_kind:     hidden_grid_dims
      - .offset:         216
        .size:           4
        .value_kind:     hidden_dynamic_lds_size
    .group_segment_fixed_size: 8
    .kernarg_segment_align: 8
    .kernarg_segment_size: 352
    .language:       OpenCL C
    .language_version:
      - 2
      - 0
    .max_flat_workgroup_size: 1024
    .name:           _ZN9rocsolver6v33100L18getf2_panel_kernelI19rocblas_complex_numIfEiiPKPS3_EEvT0_S7_T2_lS7_lPS7_llPT1_S7_S7_S9_l
    .private_segment_fixed_size: 0
    .sgpr_count:     38
    .sgpr_spill_count: 0
    .symbol:         _ZN9rocsolver6v33100L18getf2_panel_kernelI19rocblas_complex_numIfEiiPKPS3_EEvT0_S7_T2_lS7_lPS7_llPT1_S7_S7_S9_l.kd
    .uniform_work_group_size: 1
    .uses_dynamic_stack: false
    .vgpr_count:     34
    .vgpr_spill_count: 0
    .wavefront_size: 32
  - .args:
      - .offset:         0
        .size:           4
        .value_kind:     by_value
      - .offset:         4
        .size:           4
        .value_kind:     by_value
      - .address_space:  global
        .offset:         8
        .size:           8
        .value_kind:     global_buffer
      - .offset:         16
        .size:           8
        .value_kind:     by_value
      - .offset:         24
        .size:           4
        .value_kind:     by_value
      - .offset:         32
        .size:           8
        .value_kind:     by_value
      - .address_space:  global
        .offset:         40
        .size:           8
        .value_kind:     global_buffer
      - .offset:         48
        .size:           4
        .value_kind:     by_value
      - .offset:         52
        .size:           4
        .value_kind:     by_value
      - .offset:         56
        .size:           4
        .value_kind:     hidden_block_count_x
      - .offset:         60
        .size:           4
        .value_kind:     hidden_block_count_y
      - .offset:         64
        .size:           4
        .value_kind:     hidden_block_count_z
      - .offset:         68
        .size:           2
        .value_kind:     hidden_group_size_x
      - .offset:         70
        .size:           2
        .value_kind:     hidden_group_size_y
      - .offset:         72
        .size:           2
        .value_kind:     hidden_group_size_z
      - .offset:         74
        .size:           2
        .value_kind:     hidden_remainder_x
      - .offset:         76
        .size:           2
        .value_kind:     hidden_remainder_y
      - .offset:         78
        .size:           2
        .value_kind:     hidden_remainder_z
      - .offset:         96
        .size:           8
        .value_kind:     hidden_global_offset_x
      - .offset:         104
        .size:           8
        .value_kind:     hidden_global_offset_y
      - .offset:         112
        .size:           8
        .value_kind:     hidden_global_offset_z
      - .offset:         120
        .size:           2
        .value_kind:     hidden_grid_dims
      - .offset:         176
        .size:           4
        .value_kind:     hidden_dynamic_lds_size
    .group_segment_fixed_size: 0
    .kernarg_segment_align: 8
    .kernarg_segment_size: 312
    .language:       OpenCL C
    .language_version:
      - 2
      - 0
    .max_flat_workgroup_size: 1024
    .name:           _ZN9rocsolver6v33100L23getf2_npvt_panel_kernelI19rocblas_complex_numIfEiiPKPS3_EEvT0_S7_T2_lS7_lPT1_S7_S7_
    .private_segment_fixed_size: 0
    .sgpr_count:     24
    .sgpr_spill_count: 0
    .symbol:         _ZN9rocsolver6v33100L23getf2_npvt_panel_kernelI19rocblas_complex_numIfEiiPKPS3_EEvT0_S7_T2_lS7_lPT1_S7_S7_.kd
    .uniform_work_group_size: 1
    .uses_dynamic_stack: false
    .vgpr_count:     28
    .vgpr_spill_count: 0
    .wavefront_size: 32
  - .args:
      - .offset:         0
        .size:           4
        .value_kind:     by_value
      - .offset:         4
        .size:           4
        .value_kind:     by_value
      - .address_space:  global
        .offset:         8
        .size:           8
        .value_kind:     global_buffer
      - .address_space:  global
        .offset:         16
        .size:           8
        .value_kind:     global_buffer
      - .offset:         24
        .size:           8
        .value_kind:     by_value
      - .offset:         32
        .size:           4
        .value_kind:     by_value
      - .offset:         40
        .size:           8
        .value_kind:     by_value
      - .offset:         48
        .size:           4
        .value_kind:     hidden_block_count_x
      - .offset:         52
        .size:           4
        .value_kind:     hidden_block_count_y
      - .offset:         56
        .size:           4
        .value_kind:     hidden_block_count_z
      - .offset:         60
        .size:           2
        .value_kind:     hidden_group_size_x
      - .offset:         62
        .size:           2
        .value_kind:     hidden_group_size_y
      - .offset:         64
        .size:           2
        .value_kind:     hidden_group_size_z
      - .offset:         66
        .size:           2
        .value_kind:     hidden_remainder_x
      - .offset:         68
        .size:           2
        .value_kind:     hidden_remainder_y
      - .offset:         70
        .size:           2
        .value_kind:     hidden_remainder_z
      - .offset:         88
        .size:           8
        .value_kind:     hidden_global_offset_x
      - .offset:         96
        .size:           8
        .value_kind:     hidden_global_offset_y
      - .offset:         104
        .size:           8
        .value_kind:     hidden_global_offset_z
      - .offset:         112
        .size:           2
        .value_kind:     hidden_grid_dims
      - .offset:         168
        .size:           4
        .value_kind:     hidden_dynamic_lds_size
    .group_segment_fixed_size: 0
    .kernarg_segment_align: 8
    .kernarg_segment_size: 304
    .language:       OpenCL C
    .language_version:
      - 2
      - 0
    .max_flat_workgroup_size: 1024
    .name:           _ZN9rocsolver6v33100L25getf2_scale_update_kernelI19rocblas_complex_numIfEiPS3_EEvT0_S5_PT_T1_lS5_l
    .private_segment_fixed_size: 0
    .sgpr_count:     20
    .sgpr_spill_count: 0
    .symbol:         _ZN9rocsolver6v33100L25getf2_scale_update_kernelI19rocblas_complex_numIfEiPS3_EEvT0_S5_PT_T1_lS5_l.kd
    .uniform_work_group_size: 1
    .uses_dynamic_stack: false
    .vgpr_count:     16
    .vgpr_spill_count: 0
    .wavefront_size: 32
  - .args:
      - .offset:         0
        .size:           4
        .value_kind:     by_value
      - .offset:         4
        .size:           4
        .value_kind:     by_value
      - .address_space:  global
        .offset:         8
        .size:           8
        .value_kind:     global_buffer
      - .address_space:  global
        .offset:         16
        .size:           8
        .value_kind:     global_buffer
      - .offset:         24
        .size:           8
        .value_kind:     by_value
      - .offset:         32
        .size:           4
        .value_kind:     by_value
      - .offset:         40
        .size:           8
        .value_kind:     by_value
      - .offset:         48
        .size:           4
        .value_kind:     hidden_block_count_x
      - .offset:         52
        .size:           4
        .value_kind:     hidden_block_count_y
      - .offset:         56
        .size:           4
        .value_kind:     hidden_block_count_z
      - .offset:         60
        .size:           2
        .value_kind:     hidden_group_size_x
      - .offset:         62
        .size:           2
        .value_kind:     hidden_group_size_y
      - .offset:         64
        .size:           2
        .value_kind:     hidden_group_size_z
      - .offset:         66
        .size:           2
        .value_kind:     hidden_remainder_x
      - .offset:         68
        .size:           2
        .value_kind:     hidden_remainder_y
      - .offset:         70
        .size:           2
        .value_kind:     hidden_remainder_z
      - .offset:         88
        .size:           8
        .value_kind:     hidden_global_offset_x
      - .offset:         96
        .size:           8
        .value_kind:     hidden_global_offset_y
      - .offset:         104
        .size:           8
        .value_kind:     hidden_global_offset_z
      - .offset:         112
        .size:           2
        .value_kind:     hidden_grid_dims
      - .offset:         168
        .size:           4
        .value_kind:     hidden_dynamic_lds_size
    .group_segment_fixed_size: 0
    .kernarg_segment_align: 8
    .kernarg_segment_size: 304
    .language:       OpenCL C
    .language_version:
      - 2
      - 0
    .max_flat_workgroup_size: 1024
    .name:           _ZN9rocsolver6v33100L25getf2_scale_update_kernelI19rocblas_complex_numIfEiPKPS3_EEvT0_S7_PT_T1_lS7_l
    .private_segment_fixed_size: 0
    .sgpr_count:     22
    .sgpr_spill_count: 0
    .symbol:         _ZN9rocsolver6v33100L25getf2_scale_update_kernelI19rocblas_complex_numIfEiPKPS3_EEvT0_S7_PT_T1_lS7_l.kd
    .uniform_work_group_size: 1
    .uses_dynamic_stack: false
    .vgpr_count:     14
    .vgpr_spill_count: 0
    .wavefront_size: 32
  - .args:
      - .offset:         0
        .size:           8
        .value_kind:     by_value
      - .offset:         8
        .size:           8
        .value_kind:     by_value
      - .address_space:  global
        .offset:         16
        .size:           8
        .value_kind:     global_buffer
      - .offset:         24
        .size:           8
        .value_kind:     by_value
      - .offset:         32
        .size:           8
        .value_kind:     by_value
      - .offset:         40
        .size:           8
        .value_kind:     by_value
      - .address_space:  global
        .offset:         48
        .size:           8
        .value_kind:     global_buffer
      - .offset:         56
        .size:           8
        .value_kind:     by_value
      - .offset:         64
        .size:           8
        .value_kind:     by_value
      - .address_space:  global
        .offset:         72
        .size:           8
        .value_kind:     global_buffer
      - .offset:         80
        .size:           8
        .value_kind:     by_value
      - .offset:         88
        .size:           8
        .value_kind:     by_value
      - .address_space:  global
        .offset:         96
        .size:           8
        .value_kind:     global_buffer
      - .offset:         104
        .size:           8
        .value_kind:     by_value
      - .offset:         112
        .size:           4
        .value_kind:     hidden_block_count_x
      - .offset:         116
        .size:           4
        .value_kind:     hidden_block_count_y
      - .offset:         120
        .size:           4
        .value_kind:     hidden_block_count_z
      - .offset:         124
        .size:           2
        .value_kind:     hidden_group_size_x
      - .offset:         126
        .size:           2
        .value_kind:     hidden_group_size_y
      - .offset:         128
        .size:           2
        .value_kind:     hidden_group_size_z
      - .offset:         130
        .size:           2
        .value_kind:     hidden_remainder_x
      - .offset:         132
        .size:           2
        .value_kind:     hidden_remainder_y
      - .offset:         134
        .size:           2
        .value_kind:     hidden_remainder_z
      - .offset:         152
        .size:           8
        .value_kind:     hidden_global_offset_x
      - .offset:         160
        .size:           8
        .value_kind:     hidden_global_offset_y
      - .offset:         168
        .size:           8
        .value_kind:     hidden_global_offset_z
      - .offset:         176
        .size:           2
        .value_kind:     hidden_grid_dims
      - .offset:         232
        .size:           4
        .value_kind:     hidden_dynamic_lds_size
    .group_segment_fixed_size: 8
    .kernarg_segment_align: 8
    .kernarg_segment_size: 368
    .language:       OpenCL C
    .language_version:
      - 2
      - 0
    .max_flat_workgroup_size: 1024
    .name:           _ZN9rocsolver6v33100L18getf2_panel_kernelI19rocblas_complex_numIfEllPS3_EEvT0_S5_T2_lS5_lPS5_llPT1_S5_S5_S7_l
    .private_segment_fixed_size: 0
    .sgpr_count:     52
    .sgpr_spill_count: 0
    .symbol:         _ZN9rocsolver6v33100L18getf2_panel_kernelI19rocblas_complex_numIfEllPS3_EEvT0_S5_T2_lS5_lPS5_llPT1_S5_S5_S7_l.kd
    .uniform_work_group_size: 1
    .uses_dynamic_stack: false
    .vgpr_count:     42
    .vgpr_spill_count: 0
    .wavefront_size: 32
  - .args:
      - .offset:         0
        .size:           8
        .value_kind:     by_value
      - .offset:         8
        .size:           8
        .value_kind:     by_value
      - .address_space:  global
        .offset:         16
        .size:           8
        .value_kind:     global_buffer
      - .offset:         24
        .size:           8
        .value_kind:     by_value
      - .offset:         32
        .size:           8
        .value_kind:     by_value
      - .offset:         40
        .size:           8
        .value_kind:     by_value
      - .address_space:  global
        .offset:         48
        .size:           8
        .value_kind:     global_buffer
      - .offset:         56
        .size:           8
        .value_kind:     by_value
      - .offset:         64
        .size:           8
        .value_kind:     by_value
      - .offset:         72
        .size:           4
        .value_kind:     hidden_block_count_x
      - .offset:         76
        .size:           4
        .value_kind:     hidden_block_count_y
      - .offset:         80
        .size:           4
        .value_kind:     hidden_block_count_z
      - .offset:         84
        .size:           2
        .value_kind:     hidden_group_size_x
      - .offset:         86
        .size:           2
        .value_kind:     hidden_group_size_y
      - .offset:         88
        .size:           2
        .value_kind:     hidden_group_size_z
      - .offset:         90
        .size:           2
        .value_kind:     hidden_remainder_x
      - .offset:         92
        .size:           2
        .value_kind:     hidden_remainder_y
      - .offset:         94
        .size:           2
        .value_kind:     hidden_remainder_z
      - .offset:         112
        .size:           8
        .value_kind:     hidden_global_offset_x
      - .offset:         120
        .size:           8
        .value_kind:     hidden_global_offset_y
      - .offset:         128
        .size:           8
        .value_kind:     hidden_global_offset_z
      - .offset:         136
        .size:           2
        .value_kind:     hidden_grid_dims
      - .offset:         192
        .size:           4
        .value_kind:     hidden_dynamic_lds_size
    .group_segment_fixed_size: 0
    .kernarg_segment_align: 8
    .kernarg_segment_size: 328
    .language:       OpenCL C
    .language_version:
      - 2
      - 0
    .max_flat_workgroup_size: 1024
    .name:           _ZN9rocsolver6v33100L23getf2_npvt_panel_kernelI19rocblas_complex_numIfEllPS3_EEvT0_S5_T2_lS5_lPT1_S5_S5_
    .private_segment_fixed_size: 0
    .sgpr_count:     38
    .sgpr_spill_count: 0
    .symbol:         _ZN9rocsolver6v33100L23getf2_npvt_panel_kernelI19rocblas_complex_numIfEllPS3_EEvT0_S5_T2_lS5_lPT1_S5_S5_.kd
    .uniform_work_group_size: 1
    .uses_dynamic_stack: false
    .vgpr_count:     34
    .vgpr_spill_count: 0
    .wavefront_size: 32
  - .args:
      - .offset:         0
        .size:           8
        .value_kind:     by_value
      - .offset:         8
        .size:           8
        .value_kind:     by_value
      - .address_space:  global
        .offset:         16
        .size:           8
        .value_kind:     global_buffer
      - .offset:         24
        .size:           8
        .value_kind:     by_value
      - .offset:         32
        .size:           8
        .value_kind:     by_value
      - .offset:         40
        .size:           8
        .value_kind:     by_value
      - .address_space:  global
        .offset:         48
        .size:           8
        .value_kind:     global_buffer
      - .offset:         56
        .size:           8
        .value_kind:     by_value
      - .offset:         64
        .size:           8
        .value_kind:     by_value
      - .address_space:  global
        .offset:         72
        .size:           8
        .value_kind:     global_buffer
      - .offset:         80
        .size:           8
        .value_kind:     by_value
      - .offset:         88
        .size:           8
        .value_kind:     by_value
      - .address_space:  global
        .offset:         96
        .size:           8
        .value_kind:     global_buffer
      - .offset:         104
        .size:           8
        .value_kind:     by_value
      - .offset:         112
        .size:           4
        .value_kind:     hidden_block_count_x
      - .offset:         116
        .size:           4
        .value_kind:     hidden_block_count_y
      - .offset:         120
        .size:           4
        .value_kind:     hidden_block_count_z
      - .offset:         124
        .size:           2
        .value_kind:     hidden_group_size_x
      - .offset:         126
        .size:           2
        .value_kind:     hidden_group_size_y
      - .offset:         128
        .size:           2
        .value_kind:     hidden_group_size_z
      - .offset:         130
        .size:           2
        .value_kind:     hidden_remainder_x
      - .offset:         132
        .size:           2
        .value_kind:     hidden_remainder_y
      - .offset:         134
        .size:           2
        .value_kind:     hidden_remainder_z
      - .offset:         152
        .size:           8
        .value_kind:     hidden_global_offset_x
      - .offset:         160
        .size:           8
        .value_kind:     hidden_global_offset_y
      - .offset:         168
        .size:           8
        .value_kind:     hidden_global_offset_z
      - .offset:         176
        .size:           2
        .value_kind:     hidden_grid_dims
      - .offset:         232
        .size:           4
        .value_kind:     hidden_dynamic_lds_size
    .group_segment_fixed_size: 8
    .kernarg_segment_align: 8
    .kernarg_segment_size: 368
    .language:       OpenCL C
    .language_version:
      - 2
      - 0
    .max_flat_workgroup_size: 1024
    .name:           _ZN9rocsolver6v33100L18getf2_panel_kernelI19rocblas_complex_numIfEllPKPS3_EEvT0_S7_T2_lS7_lPS7_llPT1_S7_S7_S9_l
    .private_segment_fixed_size: 0
    .sgpr_count:     52
    .sgpr_spill_count: 0
    .symbol:         _ZN9rocsolver6v33100L18getf2_panel_kernelI19rocblas_complex_numIfEllPKPS3_EEvT0_S7_T2_lS7_lPS7_llPT1_S7_S7_S9_l.kd
    .uniform_work_group_size: 1
    .uses_dynamic_stack: false
    .vgpr_count:     40
    .vgpr_spill_count: 0
    .wavefront_size: 32
  - .args:
      - .offset:         0
        .size:           8
        .value_kind:     by_value
      - .offset:         8
        .size:           8
        .value_kind:     by_value
      - .address_space:  global
        .offset:         16
        .size:           8
        .value_kind:     global_buffer
      - .offset:         24
        .size:           8
        .value_kind:     by_value
      - .offset:         32
        .size:           8
        .value_kind:     by_value
      - .offset:         40
        .size:           8
        .value_kind:     by_value
      - .address_space:  global
        .offset:         48
        .size:           8
        .value_kind:     global_buffer
      - .offset:         56
        .size:           8
        .value_kind:     by_value
      - .offset:         64
        .size:           8
        .value_kind:     by_value
      - .offset:         72
        .size:           4
        .value_kind:     hidden_block_count_x
      - .offset:         76
        .size:           4
        .value_kind:     hidden_block_count_y
      - .offset:         80
        .size:           4
        .value_kind:     hidden_block_count_z
      - .offset:         84
        .size:           2
        .value_kind:     hidden_group_size_x
      - .offset:         86
        .size:           2
        .value_kind:     hidden_group_size_y
      - .offset:         88
        .size:           2
        .value_kind:     hidden_group_size_z
      - .offset:         90
        .size:           2
        .value_kind:     hidden_remainder_x
      - .offset:         92
        .size:           2
        .value_kind:     hidden_remainder_y
      - .offset:         94
        .size:           2
        .value_kind:     hidden_remainder_z
      - .offset:         112
        .size:           8
        .value_kind:     hidden_global_offset_x
      - .offset:         120
        .size:           8
        .value_kind:     hidden_global_offset_y
      - .offset:         128
        .size:           8
        .value_kind:     hidden_global_offset_z
      - .offset:         136
        .size:           2
        .value_kind:     hidden_grid_dims
      - .offset:         192
        .size:           4
        .value_kind:     hidden_dynamic_lds_size
    .group_segment_fixed_size: 0
    .kernarg_segment_align: 8
    .kernarg_segment_size: 328
    .language:       OpenCL C
    .language_version:
      - 2
      - 0
    .max_flat_workgroup_size: 1024
    .name:           _ZN9rocsolver6v33100L23getf2_npvt_panel_kernelI19rocblas_complex_numIfEllPKPS3_EEvT0_S7_T2_lS7_lPT1_S7_S7_
    .private_segment_fixed_size: 0
    .sgpr_count:     34
    .sgpr_spill_count: 0
    .symbol:         _ZN9rocsolver6v33100L23getf2_npvt_panel_kernelI19rocblas_complex_numIfEllPKPS3_EEvT0_S7_T2_lS7_lPT1_S7_S7_.kd
    .uniform_work_group_size: 1
    .uses_dynamic_stack: false
    .vgpr_count:     34
    .vgpr_spill_count: 0
    .wavefront_size: 32
  - .args:
      - .offset:         0
        .size:           8
        .value_kind:     by_value
      - .offset:         8
        .size:           8
        .value_kind:     by_value
      - .address_space:  global
        .offset:         16
        .size:           8
        .value_kind:     global_buffer
      - .address_space:  global
        .offset:         24
        .size:           8
        .value_kind:     global_buffer
      - .offset:         32
        .size:           8
        .value_kind:     by_value
      - .offset:         40
        .size:           8
        .value_kind:     by_value
      - .offset:         48
        .size:           8
        .value_kind:     by_value
      - .offset:         56
        .size:           4
        .value_kind:     hidden_block_count_x
      - .offset:         60
        .size:           4
        .value_kind:     hidden_block_count_y
      - .offset:         64
        .size:           4
        .value_kind:     hidden_block_count_z
      - .offset:         68
        .size:           2
        .value_kind:     hidden_group_size_x
      - .offset:         70
        .size:           2
        .value_kind:     hidden_group_size_y
      - .offset:         72
        .size:           2
        .value_kind:     hidden_group_size_z
      - .offset:         74
        .size:           2
        .value_kind:     hidden_remainder_x
      - .offset:         76
        .size:           2
        .value_kind:     hidden_remainder_y
      - .offset:         78
        .size:           2
        .value_kind:     hidden_remainder_z
      - .offset:         96
        .size:           8
        .value_kind:     hidden_global_offset_x
      - .offset:         104
        .size:           8
        .value_kind:     hidden_global_offset_y
      - .offset:         112
        .size:           8
        .value_kind:     hidden_global_offset_z
      - .offset:         120
        .size:           2
        .value_kind:     hidden_grid_dims
      - .offset:         176
        .size:           4
        .value_kind:     hidden_dynamic_lds_size
    .group_segment_fixed_size: 0
    .kernarg_segment_align: 8
    .kernarg_segment_size: 312
    .language:       OpenCL C
    .language_version:
      - 2
      - 0
    .max_flat_workgroup_size: 1024
    .name:           _ZN9rocsolver6v33100L25getf2_scale_update_kernelI19rocblas_complex_numIfElPS3_EEvT0_S5_PT_T1_lS5_l
    .private_segment_fixed_size: 0
    .sgpr_count:     26
    .sgpr_spill_count: 0
    .symbol:         _ZN9rocsolver6v33100L25getf2_scale_update_kernelI19rocblas_complex_numIfElPS3_EEvT0_S5_PT_T1_lS5_l.kd
    .uniform_work_group_size: 1
    .uses_dynamic_stack: false
    .vgpr_count:     18
    .vgpr_spill_count: 0
    .wavefront_size: 32
  - .args:
      - .offset:         0
        .size:           8
        .value_kind:     by_value
      - .offset:         8
        .size:           8
        .value_kind:     by_value
      - .address_space:  global
        .offset:         16
        .size:           8
        .value_kind:     global_buffer
      - .address_space:  global
        .offset:         24
        .size:           8
        .value_kind:     global_buffer
      - .offset:         32
        .size:           8
        .value_kind:     by_value
      - .offset:         40
        .size:           8
        .value_kind:     by_value
      - .offset:         48
        .size:           8
        .value_kind:     by_value
      - .offset:         56
        .size:           4
        .value_kind:     hidden_block_count_x
      - .offset:         60
        .size:           4
        .value_kind:     hidden_block_count_y
      - .offset:         64
        .size:           4
        .value_kind:     hidden_block_count_z
      - .offset:         68
        .size:           2
        .value_kind:     hidden_group_size_x
      - .offset:         70
        .size:           2
        .value_kind:     hidden_group_size_y
      - .offset:         72
        .size:           2
        .value_kind:     hidden_group_size_z
      - .offset:         74
        .size:           2
        .value_kind:     hidden_remainder_x
      - .offset:         76
        .size:           2
        .value_kind:     hidden_remainder_y
      - .offset:         78
        .size:           2
        .value_kind:     hidden_remainder_z
      - .offset:         96
        .size:           8
        .value_kind:     hidden_global_offset_x
      - .offset:         104
        .size:           8
        .value_kind:     hidden_global_offset_y
      - .offset:         112
        .size:           8
        .value_kind:     hidden_global_offset_z
      - .offset:         120
        .size:           2
        .value_kind:     hidden_grid_dims
      - .offset:         176
        .size:           4
        .value_kind:     hidden_dynamic_lds_size
    .group_segment_fixed_size: 0
    .kernarg_segment_align: 8
    .kernarg_segment_size: 312
    .language:       OpenCL C
    .language_version:
      - 2
      - 0
    .max_flat_workgroup_size: 1024
    .name:           _ZN9rocsolver6v33100L25getf2_scale_update_kernelI19rocblas_complex_numIfElPKPS3_EEvT0_S7_PT_T1_lS7_l
    .private_segment_fixed_size: 0
    .sgpr_count:     24
    .sgpr_spill_count: 0
    .symbol:         _ZN9rocsolver6v33100L25getf2_scale_update_kernelI19rocblas_complex_numIfElPKPS3_EEvT0_S7_PT_T1_lS7_l.kd
    .uniform_work_group_size: 1
    .uses_dynamic_stack: false
    .vgpr_count:     16
    .vgpr_spill_count: 0
    .wavefront_size: 32
amdhsa.target:   amdgcn-amd-amdhsa--gfx1250
amdhsa.version:
  - 1
  - 2
...

	.end_amdgpu_metadata
